;; amdgpu-corpus repo=ROCm/rocFFT kind=compiled arch=gfx1030 opt=O3
	.text
	.amdgcn_target "amdgcn-amd-amdhsa--gfx1030"
	.amdhsa_code_object_version 6
	.protected	bluestein_single_back_len595_dim1_sp_op_CI_CI ; -- Begin function bluestein_single_back_len595_dim1_sp_op_CI_CI
	.globl	bluestein_single_back_len595_dim1_sp_op_CI_CI
	.p2align	8
	.type	bluestein_single_back_len595_dim1_sp_op_CI_CI,@function
bluestein_single_back_len595_dim1_sp_op_CI_CI: ; @bluestein_single_back_len595_dim1_sp_op_CI_CI
; %bb.0:
	s_load_dwordx4 s[12:15], s[4:5], 0x28
	v_mul_u32_u24_e32 v1, 0xf10, v0
	s_mov_b64 s[22:23], s[2:3]
	s_mov_b64 s[20:21], s[0:1]
	s_add_u32 s20, s20, s7
	v_lshrrev_b32_e32 v1, 16, v1
	s_addc_u32 s21, s21, 0
	v_mad_u64_u32 v[79:80], null, s6, 3, v[1:2]
	v_mov_b32_e32 v80, 0
                                        ; kill: def $vgpr2 killed $sgpr0 killed $exec
	s_mov_b32 s0, exec_lo
	s_waitcnt lgkmcnt(0)
	v_cmpx_gt_u64_e64 s[12:13], v[79:80]
	s_cbranch_execz .LBB0_10
; %bb.1:
	s_clause 0x1
	s_load_dwordx4 s[8:11], s[4:5], 0x18
	s_load_dwordx4 s[0:3], s[4:5], 0x0
	v_mul_lo_u16 v1, v1, 17
	v_sub_nc_u16 v12, v0, v1
	v_and_b32_e32 v122, 0xffff, v12
	v_lshlrev_b32_e32 v0, 3, v122
	v_or_b32_e32 v15, 0x220, v122
	v_add_co_u32 v151, null, v122, 34
	s_waitcnt lgkmcnt(0)
	s_load_dwordx4 s[16:19], s[8:9], 0x0
	v_add_co_u32 v7, s6, s0, v0
	v_add_co_ci_u32_e64 v8, null, s1, 0, s6
	v_lshlrev_b32_e32 v9, 3, v15
	v_add_co_u32 v3, vcc_lo, 0x800, v7
	v_add_co_ci_u32_e32 v4, vcc_lo, 0, v8, vcc_lo
	s_clause 0xc
	global_load_dwordx2 v[139:140], v0, s[0:1] offset:2040
	global_load_dwordx2 v[141:142], v0, s[0:1] offset:1360
	;; [unrolled: 1-line block ×6, first 2 shown]
	global_load_dwordx2 v[149:150], v0, s[0:1]
	global_load_dwordx2 v[133:134], v0, s[0:1] offset:136
	global_load_dwordx2 v[116:117], v0, s[0:1] offset:272
	global_load_dwordx2 v[96:97], v0, s[0:1] offset:408
	global_load_dwordx2 v[86:87], v0, s[0:1] offset:1088
	global_load_dwordx2 v[112:113], v0, s[0:1] offset:1632
	global_load_dwordx2 v[92:93], v0, s[0:1] offset:1768
	buffer_store_dword v9, off, s[20:23], 0 offset:320 ; 4-byte Folded Spill
	v_add_co_u32 v7, vcc_lo, 0x1000, v7
	s_clause 0x1
	global_load_dwordx2 v[102:103], v9, s[0:1]
	global_load_dwordx2 v[137:138], v[3:4], off offset:2032
	v_add_co_ci_u32_e32 v8, vcc_lo, 0, v8, vcc_lo
	s_clause 0x2
	global_load_dwordx2 v[135:136], v[3:4], off offset:128
	global_load_dwordx2 v[147:148], v[3:4], off offset:672
	;; [unrolled: 1-line block ×3, first 2 shown]
	s_waitcnt lgkmcnt(0)
	v_mad_u64_u32 v[1:2], null, s18, v79, 0
	v_mad_u64_u32 v[5:6], null, s16, v122, 0
	s_mul_i32 s7, s17, 0x2a8
	s_mul_hi_u32 s8, s16, 0x2a8
	s_mul_i32 s6, s16, 0x2a8
	s_add_i32 s7, s8, s7
	v_mad_u64_u32 v[9:10], null, s19, v79, v[2:3]
	v_mad_u64_u32 v[10:11], null, s17, v122, v[6:7]
	buffer_store_dword v15, off, s[20:23], 0 offset:16 ; 4-byte Folded Spill
	s_mul_hi_u32 s12, s16, 0xfffff098
	s_mul_i32 s9, s17, 0xfffff098
	s_mul_i32 s13, s16, 0xfffff098
	v_mov_b32_e32 v2, v9
	s_sub_i32 s8, s12, s16
	v_mov_b32_e32 v6, v10
	v_mad_u64_u32 v[9:10], null, s16, v15, 0
	v_lshlrev_b64 v[1:2], 3, v[1:2]
	s_add_i32 s8, s8, s9
	v_lshlrev_b64 v[5:6], 3, v[5:6]
	s_mul_i32 s9, s17, 0xfffff340
	s_sub_i32 s9, s9, s16
	v_add_co_u32 v23, vcc_lo, s14, v1
	v_add_co_ci_u32_e32 v24, vcc_lo, s15, v2, vcc_lo
	v_mad_u64_u32 v[10:11], null, s17, v15, v[10:11]
	v_add_co_u32 v1, vcc_lo, v23, v5
	v_add_co_ci_u32_e32 v2, vcc_lo, v24, v6, vcc_lo
	v_add_co_u32 v5, vcc_lo, v1, s6
	v_add_co_ci_u32_e32 v6, vcc_lo, s7, v2, vcc_lo
	v_lshlrev_b64 v[9:10], 3, v[9:10]
	v_add_co_u32 v13, vcc_lo, v5, s6
	v_add_co_ci_u32_e32 v14, vcc_lo, s7, v6, vcc_lo
	v_add_co_u32 v15, vcc_lo, v13, s6
	v_add_co_ci_u32_e32 v16, vcc_lo, s7, v14, vcc_lo
	;; [unrolled: 2-line block ×7, first 2 shown]
	global_load_dwordx2 v[9:10], v[9:10], off
	v_add_co_u32 v25, vcc_lo, v23, s6
	v_add_co_ci_u32_e32 v26, vcc_lo, s7, v24, vcc_lo
	s_clause 0x1
	global_load_dwordx2 v[1:2], v[1:2], off
	global_load_dwordx2 v[5:6], v[5:6], off
	v_add_co_u32 v27, vcc_lo, v25, s6
	v_add_co_ci_u32_e32 v28, vcc_lo, s7, v26, vcc_lo
	s_clause 0x1
	global_load_dwordx2 v[143:144], v[3:4], off offset:1352
	global_load_dwordx2 v[127:128], v[3:4], off offset:1488
	v_add_co_u32 v29, vcc_lo, v27, s6
	v_add_co_ci_u32_e32 v30, vcc_lo, s7, v28, vcc_lo
	s_clause 0x1
	global_load_dwordx2 v[31:32], v[13:14], off
	global_load_dwordx2 v[15:16], v[15:16], off
	v_add_co_u32 v13, vcc_lo, v29, s6
	v_add_co_ci_u32_e32 v14, vcc_lo, s7, v30, vcc_lo
	global_load_dwordx2 v[17:18], v[17:18], off
	v_add_co_u32 v33, vcc_lo, v13, s6
	v_add_co_ci_u32_e32 v34, vcc_lo, s7, v14, vcc_lo
	;; [unrolled: 3-line block ×9, first 2 shown]
	s_clause 0x1
	global_load_dwordx2 v[131:132], v[7:8], off offset:120
	global_load_dwordx2 v[120:121], v[3:4], off offset:264
	global_load_dwordx2 v[33:34], v[33:34], off
	global_load_dwordx2 v[118:119], v[3:4], off offset:944
	global_load_dwordx2 v[35:36], v[35:36], off
	global_load_dwordx2 v[114:115], v[3:4], off offset:1624
	global_load_dwordx2 v[37:38], v[37:38], off
	v_mad_u64_u32 v[49:50], null, 0xfffff340, s16, v[13:14]
	global_load_dwordx2 v[39:40], v[39:40], off
	global_load_dwordx2 v[41:42], v[41:42], off
	;; [unrolled: 1-line block ×4, first 2 shown]
	v_add_nc_u32_e32 v50, s9, v50
	v_add_co_u32 v51, vcc_lo, v49, s6
	v_add_co_ci_u32_e32 v52, vcc_lo, s7, v50, vcc_lo
	v_add_co_u32 v53, vcc_lo, v51, s6
	v_add_co_ci_u32_e32 v54, vcc_lo, s7, v52, vcc_lo
	;; [unrolled: 2-line block ×3, first 2 shown]
	global_load_dwordx2 v[57:58], v[13:14], off
	global_load_dwordx2 v[49:50], v[49:50], off
	;; [unrolled: 1-line block ×5, first 2 shown]
	v_add_co_u32 v13, vcc_lo, v55, s6
	v_add_co_ci_u32_e32 v14, vcc_lo, s7, v56, vcc_lo
	s_clause 0x1
	global_load_dwordx2 v[108:109], v[3:4], off offset:400
	global_load_dwordx2 v[104:105], v[3:4], off offset:1080
	v_add_co_u32 v55, vcc_lo, v13, s6
	v_add_co_ci_u32_e32 v56, vcc_lo, s7, v14, vcc_lo
	global_load_dwordx2 v[61:62], v[13:14], off
	v_add_co_u32 v13, vcc_lo, v55, s6
	v_add_co_ci_u32_e32 v14, vcc_lo, s7, v56, vcc_lo
	v_add_co_u32 v63, vcc_lo, v13, s13
	v_add_co_ci_u32_e32 v64, vcc_lo, s8, v14, vcc_lo
	global_load_dwordx2 v[55:56], v[55:56], off
	global_load_dwordx2 v[106:107], v[3:4], off offset:1760
	global_load_dwordx2 v[65:66], v[13:14], off
	global_load_dwordx2 v[94:95], v[7:8], off offset:392
	global_load_dwordx2 v[67:68], v[63:64], off
	v_add_co_u32 v13, vcc_lo, v63, s6
	v_add_co_ci_u32_e32 v14, vcc_lo, s7, v64, vcc_lo
	s_clause 0x1
	global_load_dwordx2 v[100:101], v0, s[0:1] offset:544
	global_load_dwordx2 v[98:99], v0, s[0:1] offset:1224
	v_add_co_u32 v63, vcc_lo, v13, s6
	v_add_co_ci_u32_e32 v64, vcc_lo, s7, v14, vcc_lo
	global_load_dwordx2 v[69:70], v[13:14], off
	v_add_co_u32 v13, vcc_lo, v63, s6
	v_add_co_ci_u32_e32 v14, vcc_lo, s7, v64, vcc_lo
	s_load_dwordx2 s[8:9], s[4:5], 0x38
	v_add_co_u32 v71, vcc_lo, v13, s6
	v_add_co_ci_u32_e32 v72, vcc_lo, s7, v14, vcc_lo
	global_load_dwordx2 v[63:64], v[63:64], off
	global_load_dwordx2 v[82:83], v0, s[0:1] offset:1904
	global_load_dwordx2 v[73:74], v[13:14], off
	global_load_dwordx2 v[84:85], v[3:4], off offset:536
	global_load_dwordx2 v[75:76], v[71:72], off
	v_add_co_u32 v13, vcc_lo, v71, s6
	v_add_co_ci_u32_e32 v14, vcc_lo, s7, v72, vcc_lo
	global_load_dwordx2 v[80:81], v[3:4], off offset:1216
	v_add_co_u32 v71, vcc_lo, v13, s6
	v_add_co_ci_u32_e32 v72, vcc_lo, s7, v14, vcc_lo
	global_load_dwordx2 v[77:78], v[13:14], off
	s_clause 0x1
	global_load_dwordx2 v[88:89], v[3:4], off offset:1896
	global_load_dwordx2 v[90:91], v[7:8], off offset:528
	global_load_dwordx2 v[3:4], v[71:72], off
	v_mov_b32_e32 v8, v79
	v_mul_hi_u32 v7, 0xaaaaaaab, v79
	v_add_co_u32 v152, s4, v122, 17
	v_cmp_eq_u16_e32 vcc_lo, 0, v12
	s_waitcnt vmcnt(51)
	buffer_store_dword v8, off, s[20:23], 0 offset:188 ; 4-byte Folded Spill
	buffer_store_dword v9, off, s[20:23], 0 offset:192 ; 4-byte Folded Spill
	v_lshrrev_b32_e32 v7, 1, v7
	s_waitcnt vmcnt(50)
	v_mul_f32_e32 v8, v1, v150
	s_waitcnt vmcnt(49)
	v_mul_f32_e32 v71, v6, v146
	v_lshl_add_u32 v7, v7, 1, v7
	v_mul_f32_e32 v72, v5, v146
	v_fmac_f32_e32 v71, v5, v145
	v_sub_nc_u32_e32 v7, v79, v7
	s_waitcnt vmcnt(46)
	v_mul_f32_e32 v5, v32, v142
	v_mul_u32_u24_e32 v7, 0x253, v7
	v_fmac_f32_e32 v5, v31, v141
	v_lshlrev_b32_e32 v189, 3, v7
	v_mul_f32_e32 v7, v10, v103
	v_add_nc_u32_e32 v255, v0, v189
	v_add_co_ci_u32_e64 v0, null, 0, 0, s4
	v_mul_f32_e32 v0, v2, v150
	s_load_dwordx4 s[4:7], s[10:11], 0x0
	v_add_nc_u32_e32 v13, 0x1000, v255
	v_add_nc_u32_e32 v14, 0x800, v255
	;; [unrolled: 1-line block ×3, first 2 shown]
	v_fmac_f32_e32 v0, v1, v149
	buffer_store_dword v149, off, s[20:23], 0 offset:300 ; 4-byte Folded Spill
	buffer_store_dword v150, off, s[20:23], 0 offset:304 ; 4-byte Folded Spill
	;; [unrolled: 1-line block ×4, first 2 shown]
	v_mul_f32_e32 v79, v9, v103
	v_fmac_f32_e32 v7, v9, v102
	buffer_store_dword v102, off, s[20:23], 0 offset:108 ; 4-byte Folded Spill
	buffer_store_dword v103, off, s[20:23], 0 offset:112 ; 4-byte Folded Spill
	s_waitcnt vmcnt(45)
	v_mul_f32_e32 v9, v16, v140
	v_fmac_f32_e32 v9, v15, v139
	v_fma_f32 v1, v2, v149, -v8
	v_fma_f32 v72, v6, v145, -v72
	v_mul_f32_e32 v2, v31, v142
	s_waitcnt vmcnt(44)
	v_mul_f32_e32 v31, v18, v148
	ds_write_b64 v255, v[71:72] offset:680
	v_mul_f32_e32 v71, v17, v148
	buffer_store_dword v141, off, s[20:23], 0 offset:268 ; 4-byte Folded Spill
	buffer_store_dword v142, off, s[20:23], 0 offset:272 ; 4-byte Folded Spill
	v_fmac_f32_e32 v31, v17, v147
	s_waitcnt vmcnt(34)
	v_mul_f32_e32 v17, v34, v128
	v_fmac_f32_e32 v17, v33, v127
	v_fma_f32 v8, v10, v102, -v79
	v_mul_f32_e32 v10, v15, v140
	buffer_store_dword v139, off, s[20:23], 0 offset:260 ; 4-byte Folded Spill
	buffer_store_dword v140, off, s[20:23], 0 offset:264 ; 4-byte Folded Spill
	;; [unrolled: 1-line block ×4, first 2 shown]
	v_mul_f32_e32 v15, v20, v144
	v_fmac_f32_e32 v15, v19, v143
	v_fma_f32 v6, v32, v141, -v2
	v_mul_f32_e32 v2, v19, v144
	s_waitcnt vmcnt(32)
	v_mul_f32_e32 v19, v36, v132
	v_fmac_f32_e32 v19, v35, v131
	v_fma_f32 v10, v16, v139, -v10
	v_fma_f32 v32, v18, v147, -v71
	ds_write_b64 v255, v[5:6] offset:1360
	ds_write_b64 v255, v[9:10] offset:2040
	v_mul_f32_e32 v5, v22, v138
	ds_write_b64 v255, v[31:32] offset:2720
	buffer_store_dword v143, off, s[20:23], 0 offset:276 ; 4-byte Folded Spill
	buffer_store_dword v144, off, s[20:23], 0 offset:280 ; 4-byte Folded Spill
	v_mul_f32_e32 v9, v24, v134
	v_mul_f32_e32 v6, v21, v138
	v_fmac_f32_e32 v5, v21, v137
	buffer_store_dword v137, off, s[20:23], 0 offset:252 ; 4-byte Folded Spill
	buffer_store_dword v138, off, s[20:23], 0 offset:256 ; 4-byte Folded Spill
	s_waitcnt vmcnt(30)
	v_mul_f32_e32 v21, v38, v117
	v_fmac_f32_e32 v9, v23, v133
	v_fmac_f32_e32 v21, v37, v116
	v_fma_f32 v16, v20, v143, -v2
	v_mul_f32_e32 v2, v23, v134
	v_mul_f32_e32 v20, v35, v132
	s_waitcnt vmcnt(29)
	v_mul_f32_e32 v23, v40, v111
	v_fma_f32 v6, v22, v137, -v6
	ds_write_b64 v255, v[15:16] offset:3400
	buffer_store_dword v133, off, s[20:23], 0 offset:236 ; 4-byte Folded Spill
	buffer_store_dword v134, off, s[20:23], 0 offset:240 ; 4-byte Folded Spill
	v_mul_f32_e32 v15, v26, v130
	v_fmac_f32_e32 v23, v39, v110
	ds_write_b64 v255, v[5:6] offset:4080
	v_mul_f32_e32 v5, v28, v126
	v_fmac_f32_e32 v15, v25, v129
	v_fmac_f32_e32 v5, v27, v125
	v_fma_f32 v10, v24, v133, -v2
	v_mul_f32_e32 v2, v25, v130
	s_waitcnt vmcnt(28)
	v_mul_f32_e32 v25, v42, v113
	v_mul_f32_e32 v24, v39, v111
	ds_write2_b64 v255, v[0:1], v[9:10] offset1:17
	buffer_store_dword v129, off, s[20:23], 0 offset:220 ; 4-byte Folded Spill
	buffer_store_dword v130, off, s[20:23], 0 offset:224 ; 4-byte Folded Spill
	v_mul_f32_e32 v0, v30, v136
	v_mul_f32_e32 v1, v27, v126
	buffer_store_dword v125, off, s[20:23], 0 offset:204 ; 4-byte Folded Spill
	buffer_store_dword v126, off, s[20:23], 0 offset:208 ; 4-byte Folded Spill
	v_mul_f32_e32 v9, v48, v124
	v_mul_f32_e32 v10, v47, v124
	v_fmac_f32_e32 v0, v29, v135
	v_fmac_f32_e32 v25, v41, v112
	;; [unrolled: 1-line block ×3, first 2 shown]
	v_fma_f32 v16, v26, v129, -v2
	v_mul_f32_e32 v2, v29, v136
	buffer_store_dword v135, off, s[20:23], 0 offset:244 ; 4-byte Folded Spill
	buffer_store_dword v136, off, s[20:23], 0 offset:248 ; 4-byte Folded Spill
	v_fma_f32 v6, v28, v125, -v1
	buffer_store_dword v123, off, s[20:23], 0 offset:196 ; 4-byte Folded Spill
	buffer_store_dword v124, off, s[20:23], 0 offset:200 ; 4-byte Folded Spill
	v_fma_f32 v1, v30, v135, -v2
	v_mul_f32_e32 v2, v33, v128
	buffer_store_dword v127, off, s[20:23], 0 offset:212 ; 4-byte Folded Spill
	buffer_store_dword v128, off, s[20:23], 0 offset:216 ; 4-byte Folded Spill
	;; [unrolled: 1-line block ×4, first 2 shown]
	v_fma_f32 v10, v48, v123, -v10
	v_fma_f32 v18, v34, v127, -v2
	v_mul_f32_e32 v2, v37, v117
	buffer_store_dword v116, off, s[20:23], 0 offset:164 ; 4-byte Folded Spill
	buffer_store_dword v117, off, s[20:23], 0 offset:168 ; 4-byte Folded Spill
	v_fma_f32 v20, v36, v131, -v20
	buffer_store_dword v110, off, s[20:23], 0 offset:140 ; 4-byte Folded Spill
	buffer_store_dword v111, off, s[20:23], 0 offset:144 ; 4-byte Folded Spill
	ds_write2_b64 v13, v[19:20], v[7:8] offset0:15 offset1:32
	s_waitcnt vmcnt(27)
	v_mul_f32_e32 v7, v44, v121
	s_waitcnt vmcnt(24)
	v_mul_f32_e32 v19, v50, v97
	v_mul_f32_e32 v20, v49, v97
	v_fmac_f32_e32 v7, v43, v120
	v_fmac_f32_e32 v19, v49, v96
	v_fma_f32 v22, v38, v116, -v2
	v_mul_f32_e32 v2, v41, v113
	buffer_store_dword v112, off, s[20:23], 0 offset:148 ; 4-byte Folded Spill
	buffer_store_dword v113, off, s[20:23], 0 offset:152 ; 4-byte Folded Spill
	v_fma_f32 v24, v40, v110, -v24
                                        ; implicit-def: $vgpr110
	ds_write2_b64 v255, v[15:16], v[23:24] offset0:102 offset1:119
	v_mul_f32_e32 v15, v46, v119
	s_waitcnt vmcnt(2)
	v_mul_f32_e32 v23, v78, v89
	v_mul_f32_e32 v24, v77, v89
	v_fmac_f32_e32 v15, v45, v118
	v_fmac_f32_e32 v23, v77, v88
	v_fma_f32 v26, v42, v112, -v2
	v_mul_f32_e32 v2, v43, v121
	v_mov_b32_e32 v112, v151
	ds_write2_b64 v255, v[5:6], v[25:26] offset0:187 offset1:204
	buffer_store_dword v120, off, s[20:23], 0 offset:180 ; 4-byte Folded Spill
	buffer_store_dword v121, off, s[20:23], 0 offset:184 ; 4-byte Folded Spill
	v_mul_f32_e32 v5, v58, v115
	v_mul_f32_e32 v6, v45, v119
	buffer_store_dword v118, off, s[20:23], 0 offset:172 ; 4-byte Folded Spill
	buffer_store_dword v119, off, s[20:23], 0 offset:176 ; 4-byte Folded Spill
	s_waitcnt vmcnt(0)
	v_mul_f32_e32 v25, v3, v91
	v_fmac_f32_e32 v5, v57, v114
	v_fma_f32 v8, v44, v120, -v2
	v_mul_f32_e32 v2, v57, v115
	buffer_store_dword v114, off, s[20:23], 0 offset:156 ; 4-byte Folded Spill
	buffer_store_dword v115, off, s[20:23], 0 offset:160 ; 4-byte Folded Spill
	v_fma_f32 v16, v46, v118, -v6
	ds_write2_b64 v14, v[0:1], v[7:8] offset0:16 offset1:33
	buffer_store_dword v96, off, s[20:23], 0 offset:84 ; 4-byte Folded Spill
	buffer_store_dword v97, off, s[20:23], 0 offset:88 ; 4-byte Folded Spill
	v_mul_f32_e32 v0, v52, v87
	v_mul_f32_e32 v1, v51, v87
	;; [unrolled: 1-line block ×3, first 2 shown]
	v_fmac_f32_e32 v0, v51, v86
	v_fmac_f32_e32 v7, v59, v108
	v_fma_f32 v6, v58, v114, -v2
	ds_write2_b64 v14, v[9:10], v[15:16] offset0:101 offset1:118
	ds_write2_b64 v14, v[17:18], v[5:6] offset0:186 offset1:203
	v_fma_f32 v20, v50, v96, -v20
	v_mul_f32_e32 v5, v54, v93
	v_mul_f32_e32 v2, v53, v93
	;; [unrolled: 1-line block ×4, first 2 shown]
	ds_write2_b64 v255, v[21:22], v[19:20] offset0:34 offset1:51
	buffer_store_dword v86, off, s[20:23], 0 offset:44 ; 4-byte Folded Spill
	buffer_store_dword v87, off, s[20:23], 0 offset:48 ; 4-byte Folded Spill
	v_fmac_f32_e32 v5, v53, v92
	buffer_store_dword v92, off, s[20:23], 0 offset:68 ; 4-byte Folded Spill
	buffer_store_dword v93, off, s[20:23], 0 offset:72 ; 4-byte Folded Spill
	v_mul_f32_e32 v19, v68, v101
	v_mul_f32_e32 v10, v61, v105
	;; [unrolled: 1-line block ×3, first 2 shown]
	v_fmac_f32_e32 v9, v61, v104
	v_fmac_f32_e32 v15, v55, v106
	v_mul_f32_e32 v21, v70, v99
	v_fmac_f32_e32 v19, v67, v100
	v_mul_f32_e32 v22, v69, v99
	v_mul_f32_e32 v17, v66, v95
	;; [unrolled: 1-line block ×3, first 2 shown]
	v_fmac_f32_e32 v21, v69, v98
	v_add_co_u32 v93, null, 0x44, v122
	v_fmac_f32_e32 v17, v65, v94
	v_fma_f32 v1, v52, v86, -v1
	v_fma_f32 v6, v54, v92, -v2
	v_mul_f32_e32 v2, v59, v109
	buffer_store_dword v108, off, s[20:23], 0 offset:132 ; 4-byte Folded Spill
	buffer_store_dword v109, off, s[20:23], 0 offset:136 ; 4-byte Folded Spill
	;; [unrolled: 1-line block ×6, first 2 shown]
	v_fma_f32 v8, v60, v108, -v2
	v_mul_f32_e32 v2, v67, v101
	buffer_store_dword v100, off, s[20:23], 0 offset:100 ; 4-byte Folded Spill
	buffer_store_dword v101, off, s[20:23], 0 offset:104 ; 4-byte Folded Spill
	;; [unrolled: 1-line block ×6, first 2 shown]
	v_fma_f32 v10, v62, v104, -v10
	v_fma_f32 v16, v56, v106, -v16
                                        ; implicit-def: $vgpr104
	v_fma_f32 v20, v68, v100, -v2
	v_fma_f32 v22, v70, v98, -v22
	v_mul_f32_e32 v2, v63, v83
	v_fma_f32 v18, v66, v94, -v18
	v_add_co_u32 v94, null, v122, 51
	ds_write_b64 v255, v[19:20] offset:544
	v_mul_f32_e32 v19, v64, v83
	ds_write2_b64 v255, v[0:1], v[21:22] offset0:136 offset1:153
	v_mul_f32_e32 v0, v74, v85
	v_mul_f32_e32 v21, v76, v81
	;; [unrolled: 1-line block ×3, first 2 shown]
	v_fmac_f32_e32 v19, v63, v82
	buffer_store_dword v82, off, s[20:23], 0 offset:28 ; 4-byte Folded Spill
	buffer_store_dword v83, off, s[20:23], 0 offset:32 ; 4-byte Folded Spill
	v_fmac_f32_e32 v0, v73, v84
	buffer_store_dword v84, off, s[20:23], 0 offset:36 ; 4-byte Folded Spill
	buffer_store_dword v85, off, s[20:23], 0 offset:40 ; 4-byte Folded Spill
	v_mul_f32_e32 v22, v75, v81
	v_fmac_f32_e32 v21, v75, v80
	buffer_store_dword v80, off, s[20:23], 0 offset:20 ; 4-byte Folded Spill
	buffer_store_dword v81, off, s[20:23], 0 offset:24 ; 4-byte Folded Spill
	;; [unrolled: 1-line block ×4, first 2 shown]
	v_fma_f32 v20, v64, v82, -v2
	v_mul_f32_e32 v2, v4, v91
	v_fma_f32 v1, v74, v84, -v1
	v_fma_f32 v22, v76, v80, -v22
	v_fmac_f32_e32 v2, v3, v90
	buffer_store_dword v90, off, s[20:23], 0 offset:60 ; 4-byte Folded Spill
	buffer_store_dword v91, off, s[20:23], 0 offset:64 ; 4-byte Folded Spill
	v_fma_f32 v24, v78, v88, -v24
	v_fma_f32 v3, v4, v90, -v25
	ds_write2_b64 v255, v[5:6], v[19:20] offset0:221 offset1:238
	ds_write2_b64 v14, v[7:8], v[0:1] offset0:50 offset1:67
	ds_write2_b64 v14, v[9:10], v[21:22] offset0:135 offset1:152
	ds_write2_b64 v14, v[15:16], v[23:24] offset0:220 offset1:237
	ds_write2_b64 v13, v[17:18], v[2:3] offset0:49 offset1:66
	s_waitcnt lgkmcnt(0)
	s_waitcnt_vscnt null, 0x0
	s_barrier
	buffer_gl0_inv
	ds_read2_b64 v[0:3], v255 offset0:68 offset1:85
	ds_read2_b64 v[15:18], v11 offset0:126 offset1:143
	;; [unrolled: 1-line block ×4, first 2 shown]
	buffer_store_dword v122, off, s[20:23], 0 ; 4-byte Folded Spill
	ds_read2_b64 v[23:26], v255 offset1:17
	ds_read2_b64 v[8:11], v255 offset0:238 offset1:255
	ds_read2_b64 v[27:30], v14 offset0:84 offset1:101
	;; [unrolled: 1-line block ×12, first 2 shown]
	ds_read_b64 v[71:72], v255 offset:4624
	s_waitcnt lgkmcnt(0)
	s_waitcnt_vscnt null, 0x0
	s_barrier
	buffer_gl0_inv
	v_add_f32_e32 v77, v47, v41
	v_add_f32_e32 v78, v48, v42
	;; [unrolled: 1-line block ×5, first 2 shown]
	v_sub_f32_e32 v2, v2, v15
	v_sub_f32_e32 v3, v3, v16
	v_add_f32_e32 v15, v19, v6
	v_add_f32_e32 v16, v20, v7
	v_sub_f32_e32 v6, v19, v6
	v_sub_f32_e32 v7, v20, v7
	v_add_f32_e32 v19, v10, v27
	v_add_f32_e32 v20, v11, v28
	;; [unrolled: 4-line block ×5, first 2 shown]
	v_sub_f32_e32 v29, v29, v35
	v_sub_f32_e32 v30, v30, v36
	v_add_f32_e32 v76, v34, v56
	v_sub_f32_e32 v55, v33, v55
	v_sub_f32_e32 v56, v34, v56
	v_add_f32_e32 v33, v15, v73
	v_add_f32_e32 v34, v16, v74
	v_sub_f32_e32 v35, v15, v73
	v_sub_f32_e32 v36, v16, v74
	;; [unrolled: 1-line block ×4, first 2 shown]
	v_add_f32_e32 v79, v10, v6
	v_add_f32_e32 v80, v11, v7
	v_sub_f32_e32 v81, v10, v6
	v_sub_f32_e32 v82, v11, v7
	v_add_f32_e32 v83, v31, v27
	v_add_f32_e32 v84, v32, v28
	v_sub_f32_e32 v73, v73, v19
	v_sub_f32_e32 v74, v74, v20
	;; [unrolled: 1-line block ×10, first 2 shown]
	v_add_f32_e32 v87, v29, v21
	v_add_f32_e32 v88, v30, v22
	v_sub_f32_e32 v89, v29, v21
	v_sub_f32_e32 v90, v30, v22
	v_add_f32_e32 v19, v19, v33
	v_add_f32_e32 v20, v20, v34
	;; [unrolled: 1-line block ×4, first 2 shown]
	v_mul_f32_e32 v79, 0x3d64c772, v15
	v_mul_f32_e32 v80, 0x3d64c772, v16
	;; [unrolled: 1-line block ×4, first 2 shown]
	v_add_f32_e32 v39, v39, v83
	v_add_f32_e32 v40, v40, v84
	v_sub_f32_e32 v10, v2, v10
	v_sub_f32_e32 v11, v3, v11
	v_sub_f32_e32 v29, v17, v29
	v_sub_f32_e32 v30, v18, v30
	v_sub_f32_e32 v21, v21, v17
	v_sub_f32_e32 v22, v22, v18
	v_mul_f32_e32 v73, 0x3f4a47b2, v73
	v_mul_f32_e32 v74, 0x3f4a47b2, v74
	;; [unrolled: 1-line block ×4, first 2 shown]
	v_add_f32_e32 v17, v87, v17
	v_add_f32_e32 v18, v88, v18
	v_mul_f32_e32 v27, 0x3f4a47b2, v27
	v_mul_f32_e32 v28, 0x3f4a47b2, v28
	;; [unrolled: 1-line block ×6, first 2 shown]
	v_add_f32_e32 v2, v23, v19
	v_add_f32_e32 v3, v24, v20
	v_fma_f32 v23, 0x3f3bfb3b, v35, -v79
	v_fma_f32 v24, 0x3f3bfb3b, v36, -v80
	v_fma_f32 v79, 0x3f5ff5aa, v6, -v81
	v_fma_f32 v80, 0x3f5ff5aa, v7, -v82
	v_add_f32_e32 v6, v25, v39
	v_add_f32_e32 v7, v26, v40
	v_mul_f32_e32 v89, 0x3f5ff5aa, v21
	v_mul_f32_e32 v90, 0x3f5ff5aa, v22
	v_fmamk_f32 v15, v15, 0x3d64c772, v73
	v_fmamk_f32 v16, v16, 0x3d64c772, v74
	v_fma_f32 v35, 0xbf3bfb3b, v35, -v73
	v_fma_f32 v36, 0xbf3bfb3b, v36, -v74
	v_fmamk_f32 v73, v10, 0x3eae86e6, v81
	v_fmamk_f32 v74, v11, 0x3eae86e6, v82
	v_fma_f32 v81, 0xbeae86e6, v10, -v91
	v_fma_f32 v82, 0xbeae86e6, v11, -v92
	;; [unrolled: 4-line block ×3, first 2 shown]
	v_fma_f32 v32, 0x3f5ff5aa, v21, -v87
	v_fma_f32 v31, 0x3f5ff5aa, v22, -v88
	v_fmamk_f32 v19, v19, 0xbf955555, v2
	v_fmamk_f32 v20, v20, 0xbf955555, v3
	;; [unrolled: 1-line block ×4, first 2 shown]
	v_fma_f32 v27, 0xbf3bfb3b, v85, -v27
	v_fma_f32 v28, 0xbf3bfb3b, v86, -v28
	v_fmamk_f32 v83, v29, 0x3eae86e6, v87
	v_fmamk_f32 v84, v30, 0x3eae86e6, v88
	v_fma_f32 v85, 0xbeae86e6, v29, -v89
	v_fma_f32 v86, 0xbeae86e6, v30, -v90
	v_fmac_f32_e32 v73, 0x3ee1c552, v33
	v_fmac_f32_e32 v74, 0x3ee1c552, v34
	;; [unrolled: 1-line block ×6, first 2 shown]
	v_add_f32_e32 v29, v15, v19
	v_add_f32_e32 v30, v16, v20
	v_add_f32_e32 v23, v23, v19
	v_add_f32_e32 v24, v24, v20
	v_add_f32_e32 v39, v25, v21
	v_add_f32_e32 v40, v26, v22
	v_fmac_f32_e32 v81, 0x3ee1c552, v33
	v_fmac_f32_e32 v82, 0x3ee1c552, v34
	;; [unrolled: 1-line block ×6, first 2 shown]
	v_add_f32_e32 v33, v35, v19
	v_add_f32_e32 v34, v36, v20
	;; [unrolled: 1-line block ×5, first 2 shown]
	v_sub_f32_e32 v11, v30, v73
	v_sub_f32_e32 v17, v23, v80
	v_add_f32_e32 v18, v79, v24
	v_add_f32_e32 v19, v80, v23
	v_sub_f32_e32 v20, v24, v79
	v_sub_f32_e32 v23, v29, v74
	v_add_f32_e32 v24, v73, v30
	v_sub_f32_e32 v29, v39, v31
	v_add_f32_e32 v30, v32, v40
	v_add_f32_e32 v31, v31, v39
	v_sub_f32_e32 v32, v40, v32
	v_sub_f32_e32 v39, v47, v41
	;; [unrolled: 1-line block ×3, first 2 shown]
	v_add_f32_e32 v41, v37, v51
	v_add_f32_e32 v42, v38, v52
	v_sub_f32_e32 v37, v51, v37
	v_sub_f32_e32 v38, v52, v38
	v_add_f32_e32 v47, v77, v75
	v_add_f32_e32 v48, v78, v76
	v_sub_f32_e32 v51, v77, v75
	v_sub_f32_e32 v52, v78, v76
	;; [unrolled: 1-line block ×6, first 2 shown]
	v_add_f32_e32 v77, v37, v39
	v_add_f32_e32 v78, v38, v40
	v_sub_f32_e32 v79, v37, v39
	v_sub_f32_e32 v80, v38, v40
	;; [unrolled: 1-line block ×3, first 2 shown]
	v_add_f32_e32 v41, v41, v47
	v_add_f32_e32 v42, v42, v48
	;; [unrolled: 1-line block ×5, first 2 shown]
	v_sub_f32_e32 v16, v34, v81
	v_sub_f32_e32 v21, v33, v82
	v_add_f32_e32 v22, v81, v34
	v_sub_f32_e32 v81, v55, v37
	v_sub_f32_e32 v82, v56, v38
	;; [unrolled: 1-line block ×3, first 2 shown]
	v_add_f32_e32 v47, v77, v55
	v_add_f32_e32 v48, v78, v56
	;; [unrolled: 1-line block ×4, first 2 shown]
	v_mul_f32_e32 v43, 0x3f4a47b2, v73
	v_mul_f32_e32 v44, 0x3f4a47b2, v74
	;; [unrolled: 1-line block ×8, first 2 shown]
	v_fmamk_f32 v41, v41, 0xbf955555, v37
	v_fmamk_f32 v42, v42, 0xbf955555, v38
	;; [unrolled: 1-line block ×4, first 2 shown]
	v_fma_f32 v55, 0x3f3bfb3b, v51, -v55
	v_fma_f32 v56, 0x3f3bfb3b, v52, -v56
	;; [unrolled: 1-line block ×4, first 2 shown]
	v_fmamk_f32 v79, v81, 0x3eae86e6, v73
	v_fma_f32 v51, 0x3f5ff5aa, v39, -v73
	v_fma_f32 v52, 0x3f5ff5aa, v40, -v74
	;; [unrolled: 1-line block ×3, first 2 shown]
	v_fmamk_f32 v80, v82, 0x3eae86e6, v74
	v_fma_f32 v74, 0xbeae86e6, v82, -v78
	v_add_f32_e32 v55, v55, v41
	v_add_f32_e32 v78, v44, v42
	v_fmac_f32_e32 v73, 0x3ee1c552, v47
	v_fmac_f32_e32 v52, 0x3ee1c552, v48
	v_add_f32_e32 v76, v76, v42
	v_add_f32_e32 v56, v56, v42
	;; [unrolled: 1-line block ×3, first 2 shown]
	v_fmac_f32_e32 v79, 0x3ee1c552, v47
	v_fmac_f32_e32 v51, 0x3ee1c552, v47
	;; [unrolled: 1-line block ×3, first 2 shown]
	v_sub_f32_e32 v42, v78, v73
	v_sub_f32_e32 v43, v55, v52
	v_add_f32_e32 v47, v52, v55
	v_add_f32_e32 v52, v73, v78
	;; [unrolled: 1-line block ×3, first 2 shown]
	v_sub_f32_e32 v57, v59, v57
	v_add_f32_e32 v59, v49, v67
	v_add_f32_e32 v75, v75, v41
	v_fmac_f32_e32 v80, 0x3ee1c552, v48
	v_add_f32_e32 v41, v74, v77
	v_add_f32_e32 v44, v51, v56
	v_sub_f32_e32 v48, v56, v51
	v_sub_f32_e32 v51, v77, v74
	v_add_f32_e32 v74, v60, v58
	v_sub_f32_e32 v58, v60, v58
	v_add_f32_e32 v60, v50, v68
	;; [unrolled: 2-line block ×4, first 2 shown]
	v_add_f32_e32 v39, v75, v80
	v_sub_f32_e32 v55, v75, v80
	v_sub_f32_e32 v50, v50, v68
	v_add_f32_e32 v68, v64, v54
	v_sub_f32_e32 v54, v54, v64
	v_add_f32_e32 v64, v60, v74
	v_sub_f32_e32 v75, v59, v73
	v_sub_f32_e32 v73, v73, v67
	;; [unrolled: 1-line block ×3, first 2 shown]
	v_add_f32_e32 v63, v67, v63
	v_sub_f32_e32 v40, v76, v79
	v_add_f32_e32 v56, v79, v76
	v_sub_f32_e32 v76, v60, v74
	v_sub_f32_e32 v74, v74, v68
	;; [unrolled: 1-line block ×3, first 2 shown]
	v_add_f32_e32 v77, v53, v49
	v_add_f32_e32 v78, v54, v50
	v_sub_f32_e32 v79, v53, v49
	v_sub_f32_e32 v80, v54, v50
	v_add_f32_e32 v64, v68, v64
	v_sub_f32_e32 v50, v50, v58
	v_add_f32_e32 v45, v45, v63
	v_mul_f32_e32 v67, 0x3f4a47b2, v73
	v_mul_f32_e32 v73, 0x3d64c772, v59
	v_sub_f32_e32 v53, v57, v53
	v_sub_f32_e32 v54, v58, v54
	;; [unrolled: 1-line block ×3, first 2 shown]
	v_add_f32_e32 v57, v77, v57
	v_add_f32_e32 v58, v78, v58
	;; [unrolled: 1-line block ×3, first 2 shown]
	v_mul_f32_e32 v68, 0x3f4a47b2, v74
	v_mul_f32_e32 v74, 0x3d64c772, v60
	;; [unrolled: 1-line block ×5, first 2 shown]
	v_fmamk_f32 v63, v63, 0xbf955555, v45
	v_fmamk_f32 v59, v59, 0x3d64c772, v67
	v_fma_f32 v73, 0x3f3bfb3b, v75, -v73
	v_mul_f32_e32 v79, 0x3f5ff5aa, v49
	v_fmamk_f32 v64, v64, 0xbf955555, v46
	v_fmamk_f32 v60, v60, 0x3d64c772, v68
	v_fma_f32 v74, 0x3f3bfb3b, v76, -v74
	v_fma_f32 v67, 0xbf3bfb3b, v75, -v67
	v_fma_f32 v68, 0xbf3bfb3b, v76, -v68
	v_fmamk_f32 v75, v53, 0x3eae86e6, v77
	v_fmamk_f32 v76, v54, 0x3eae86e6, v78
	v_fma_f32 v78, 0x3f5ff5aa, v50, -v78
	v_fma_f32 v80, 0xbeae86e6, v54, -v80
	v_add_f32_e32 v81, v59, v63
	v_add_f32_e32 v59, v73, v63
	;; [unrolled: 1-line block ×3, first 2 shown]
	v_sub_f32_e32 v61, v61, v71
	v_add_f32_e32 v71, v8, v69
	v_fma_f32 v77, 0x3f5ff5aa, v49, -v77
	v_fma_f32 v79, 0xbeae86e6, v53, -v79
	v_add_f32_e32 v82, v60, v64
	v_add_f32_e32 v60, v74, v64
	;; [unrolled: 1-line block ×3, first 2 shown]
	v_fmac_f32_e32 v75, 0x3ee1c552, v57
	v_fmac_f32_e32 v76, 0x3ee1c552, v58
	;; [unrolled: 1-line block ×4, first 2 shown]
	v_add_f32_e32 v74, v62, v72
	v_sub_f32_e32 v62, v62, v72
	v_add_f32_e32 v72, v9, v70
	v_sub_f32_e32 v8, v8, v69
	v_sub_f32_e32 v9, v9, v70
	v_add_f32_e32 v69, v65, v4
	v_add_f32_e32 v70, v66, v5
	v_sub_f32_e32 v4, v4, v65
	v_sub_f32_e32 v5, v5, v66
	v_add_f32_e32 v65, v71, v73
	v_add_f32_e32 v64, v68, v64
	v_fmac_f32_e32 v77, 0x3ee1c552, v57
	v_fmac_f32_e32 v79, 0x3ee1c552, v57
	v_add_f32_e32 v49, v81, v76
	v_sub_f32_e32 v50, v82, v75
	v_add_f32_e32 v53, v80, v63
	v_sub_f32_e32 v57, v59, v78
	;; [unrolled: 2-line block ×3, first 2 shown]
	v_sub_f32_e32 v67, v81, v76
	v_add_f32_e32 v68, v75, v82
	v_add_f32_e32 v66, v72, v74
	v_sub_f32_e32 v75, v71, v73
	v_sub_f32_e32 v76, v72, v74
	;; [unrolled: 1-line block ×6, first 2 shown]
	v_add_f32_e32 v78, v5, v9
	v_sub_f32_e32 v80, v5, v9
	v_add_f32_e32 v65, v69, v65
	v_sub_f32_e32 v54, v64, v79
	;; [unrolled: 2-line block ×3, first 2 shown]
	v_add_f32_e32 v64, v79, v64
	v_add_f32_e32 v77, v4, v8
	v_sub_f32_e32 v79, v4, v8
	v_sub_f32_e32 v5, v62, v5
	;; [unrolled: 1-line block ×3, first 2 shown]
	v_add_f32_e32 v66, v70, v66
	v_sub_f32_e32 v9, v9, v62
	v_add_f32_e32 v62, v78, v62
	v_add_f32_e32 v0, v0, v65
	v_mul_f32_e32 v69, 0x3f4a47b2, v73
	v_mul_f32_e32 v70, 0x3f4a47b2, v74
	;; [unrolled: 1-line block ×5, first 2 shown]
	v_sub_f32_e32 v4, v61, v4
	v_add_f32_e32 v61, v77, v61
	v_add_f32_e32 v1, v1, v66
	v_mul_f32_e32 v77, 0xbf08b237, v79
	v_mul_f32_e32 v79, 0x3f5ff5aa, v8
	v_fmamk_f32 v65, v65, 0xbf955555, v0
	v_fmamk_f32 v72, v72, 0x3d64c772, v70
	v_fma_f32 v73, 0x3f3bfb3b, v75, -v73
	v_fma_f32 v74, 0x3f3bfb3b, v76, -v74
	;; [unrolled: 1-line block ×3, first 2 shown]
	v_fmamk_f32 v76, v5, 0x3eae86e6, v78
	v_fma_f32 v78, 0x3f5ff5aa, v9, -v78
	v_fmamk_f32 v66, v66, 0xbf955555, v1
	v_fmamk_f32 v71, v71, 0x3d64c772, v69
	v_fma_f32 v69, 0xbf3bfb3b, v75, -v69
	v_fmamk_f32 v75, v4, 0x3eae86e6, v77
	v_fma_f32 v77, 0x3f5ff5aa, v8, -v77
	v_fma_f32 v79, 0xbeae86e6, v4, -v79
	v_add_f32_e32 v73, v73, v65
	v_fmac_f32_e32 v78, 0x3ee1c552, v62
	v_mul_lo_u16 v81, v12, 7
	v_mul_f32_e32 v80, 0x3f5ff5aa, v9
	v_add_f32_e32 v71, v71, v65
	v_add_f32_e32 v72, v72, v66
	;; [unrolled: 1-line block ×3, first 2 shown]
	v_fmac_f32_e32 v75, 0x3ee1c552, v61
	v_fmac_f32_e32 v77, 0x3ee1c552, v61
	;; [unrolled: 1-line block ×3, first 2 shown]
	v_sub_f32_e32 v61, v73, v78
	v_add_f32_e32 v65, v78, v73
	v_and_b32_e32 v73, 0xffff, v81
	v_fmac_f32_e32 v76, 0x3ee1c552, v62
	v_fma_f32 v80, 0xbeae86e6, v5, -v80
	v_sub_f32_e32 v5, v72, v75
	v_add_f32_e32 v97, v75, v72
	v_lshl_add_u32 v72, v73, 3, v189
	v_add_f32_e32 v4, v71, v76
	v_sub_f32_e32 v96, v71, v76
	v_mul_u32_u24_e32 v71, 7, v152
	v_add_f32_e32 v25, v35, v84
	ds_write2_b64 v72, v[2:3], v[10:11] offset1:1
	v_mul_u32_u24_e32 v2, 7, v151
	v_sub_f32_e32 v26, v36, v83
	v_lshl_add_u32 v3, v71, 3, v189
	v_add_f32_e32 v27, v86, v87
	v_sub_f32_e32 v28, v88, v85
	v_sub_f32_e32 v33, v87, v86
	v_add_f32_e32 v34, v85, v88
	v_sub_f32_e32 v35, v35, v84
	v_add_f32_e32 v36, v83, v36
	ds_write2_b64 v72, v[15:16], v[17:18] offset0:2 offset1:3
	ds_write2_b64 v72, v[19:20], v[21:22] offset0:4 offset1:5
	buffer_store_dword v72, off, s[20:23], 0 offset:328 ; 4-byte Folded Spill
	ds_write_b64 v72, v[23:24] offset:48
	ds_write2_b64 v3, v[6:7], v[25:26] offset1:1
	v_lshl_add_u32 v7, v2, 3, v189
	v_mul_u32_u24_e32 v2, 7, v94
	ds_write2_b64 v3, v[27:28], v[29:30] offset0:2 offset1:3
	buffer_store_dword v94, off, s[20:23], 0 offset:336 ; 4-byte Folded Spill
	ds_write2_b64 v3, v[31:32], v[33:34] offset0:4 offset1:5
	buffer_store_dword v3, off, s[20:23], 0 offset:324 ; 4-byte Folded Spill
	ds_write_b64 v3, v[35:36] offset:48
	ds_write2_b64 v7, v[37:38], v[39:40] offset1:1
	v_mul_u32_u24_e32 v3, 7, v93
	v_add_f32_e32 v74, v74, v66
	v_add_f32_e32 v70, v70, v66
	v_fmac_f32_e32 v80, 0x3ee1c552, v62
	v_lshl_add_u32 v6, v2, 3, v189
	v_lshl_add_u32 v2, v3, 3, v189
	v_add_f32_e32 v62, v77, v74
	v_sub_f32_e32 v9, v70, v79
	v_add_f32_e32 v8, v80, v69
	v_sub_f32_e32 v66, v74, v77
	v_sub_f32_e32 v69, v69, v80
	v_add_f32_e32 v70, v79, v70
	buffer_store_dword v93, off, s[20:23], 0 offset:332 ; 4-byte Folded Spill
	ds_write2_b64 v7, v[41:42], v[43:44] offset0:2 offset1:3
	ds_write2_b64 v7, v[47:48], v[51:52] offset0:4 offset1:5
	buffer_store_dword v7, off, s[20:23], 0 offset:316 ; 4-byte Folded Spill
	ds_write_b64 v7, v[55:56] offset:48
	ds_write2_b64 v6, v[45:46], v[49:50] offset1:1
	ds_write2_b64 v6, v[53:54], v[57:58] offset0:2 offset1:3
	ds_write2_b64 v6, v[59:60], v[63:64] offset0:4 offset1:5
	buffer_store_dword v6, off, s[20:23], 0 offset:312 ; 4-byte Folded Spill
	ds_write_b64 v6, v[67:68] offset:48
	ds_write2_b64 v2, v[0:1], v[4:5] offset1:1
	ds_write2_b64 v2, v[8:9], v[61:62] offset0:2 offset1:3
	ds_write2_b64 v2, v[65:66], v[69:70] offset0:4 offset1:5
	v_add_nc_u32_e32 v0, 0x400, v255
	buffer_store_dword v2, off, s[20:23], 0 offset:308 ; 4-byte Folded Spill
	ds_write_b64 v2, v[96:97] offset:48
	s_waitcnt lgkmcnt(0)
	s_waitcnt_vscnt null, 0x0
	s_barrier
	buffer_gl0_inv
	ds_read2_b64 v[100:103], v255 offset1:17
	ds_read2_b64 v[72:75], v255 offset0:35 offset1:52
	ds_read2_b64 v[52:55], v255 offset0:70 offset1:87
	;; [unrolled: 1-line block ×16, first 2 shown]
                                        ; implicit-def: $vgpr4
                                        ; implicit-def: $vgpr22
                                        ; implicit-def: $vgpr26
	buffer_store_dword v4, off, s[20:23], 0 offset:8 ; 4-byte Folded Spill
	buffer_store_dword v5, off, s[20:23], 0 offset:12 ; 4-byte Folded Spill
                                        ; implicit-def: $vgpr10
                                        ; implicit-def: $vgpr6
                                        ; implicit-def: $vgpr14
	s_and_saveexec_b32 s10, vcc_lo
	s_cbranch_execz .LBB0_3
; %bb.2:
	v_add_nc_u32_e32 v8, 0x400, v189
	v_add_nc_u32_e32 v20, 0x800, v189
	;; [unrolled: 1-line block ×3, first 2 shown]
	ds_read2_b64 v[96:99], v189 offset0:34 offset1:69
	ds_read2_b64 v[12:15], v189 offset0:104 offset1:139
	;; [unrolled: 1-line block ×8, first 2 shown]
	ds_read_b64 v[20:21], v189 offset:4752
	s_waitcnt lgkmcnt(0)
	buffer_store_dword v20, off, s[20:23], 0 offset:8 ; 4-byte Folded Spill
	buffer_store_dword v21, off, s[20:23], 0 offset:12 ; 4-byte Folded Spill
.LBB0_3:
	s_or_b32 exec_lo, exec_lo, s10
	buffer_load_dword v48, off, s[20:23], 0 ; 4-byte Folded Reload
	v_and_b32_e32 v21, 0xff, v152
	buffer_store_dword v152, off, s[20:23], 0 offset:340 ; 4-byte Folded Spill
	v_mul_lo_u16 v21, v21, 37
	v_lshrrev_b16 v21, 8, v21
	v_sub_nc_u16 v35, v152, v21
	v_lshrrev_b16 v35, 1, v35
	v_and_b32_e32 v35, 0x7f, v35
	v_add_nc_u16 v21, v35, v21
	v_lshrrev_b16 v21, 2, v21
	buffer_store_dword v21, off, s[20:23], 0 offset:400 ; 4-byte Folded Spill
	v_mul_lo_u16 v21, v21, 7
	v_sub_nc_u16 v115, v152, v21
	s_waitcnt vmcnt(0)
	v_and_b32_e32 v20, 0xff, v48
	v_mul_lo_u16 v20, v20, 37
	v_lshrrev_b16 v20, 8, v20
	v_sub_nc_u16 v34, v48, v20
	v_lshrrev_b16 v34, 1, v34
	v_and_b32_e32 v34, 0x7f, v34
	v_add_nc_u16 v20, v34, v20
	v_mov_b32_e32 v34, 7
	v_lshrrev_b16 v177, 2, v20
	v_lshlrev_b32_sdwa v21, v34, v115 dst_sel:DWORD dst_unused:UNUSED_PAD src0_sel:DWORD src1_sel:BYTE_0
	v_mul_lo_u16 v20, v177, 7
	v_sub_nc_u16 v178, v48, v20
	v_lshlrev_b32_sdwa v20, v34, v178 dst_sel:DWORD dst_unused:UNUSED_PAD src0_sel:DWORD src1_sel:BYTE_0
	s_clause 0x1
	global_load_dwordx4 v[88:91], v20, s[2:3]
	global_load_dwordx4 v[48:51], v21, s[2:3]
	s_waitcnt vmcnt(1) lgkmcnt(15)
	v_mul_f32_e32 v34, v73, v89
	v_mul_f32_e32 v139, v72, v89
	s_waitcnt vmcnt(0)
	v_mul_f32_e32 v35, v75, v49
	v_mul_f32_e32 v141, v74, v49
	s_waitcnt lgkmcnt(14)
	v_mul_f32_e32 v127, v52, v91
	v_fma_f32 v143, v72, v88, -v34
	v_fmac_f32_e32 v139, v73, v88
	v_fma_f32 v144, v74, v48, -v35
	v_fmac_f32_e32 v141, v75, v48
	v_mul_f32_e32 v34, v53, v91
	v_mul_f32_e32 v35, v55, v51
	;; [unrolled: 1-line block ×3, first 2 shown]
	global_load_dwordx4 v[72:75], v20, s[2:3] offset:16
	v_fmac_f32_e32 v127, v53, v90
	v_fma_f32 v131, v52, v90, -v34
	v_fma_f32 v34, v54, v50, -v35
	v_fmac_f32_e32 v116, v55, v50
	global_load_dwordx4 v[52:55], v21, s[2:3] offset:16
	v_add_f32_e32 v222, v101, v139
	buffer_store_dword v34, off, s[20:23], 0 offset:416 ; 4-byte Folded Spill
	s_waitcnt vmcnt(1) lgkmcnt(13)
	v_mul_f32_e32 v34, v69, v73
	v_mul_f32_e32 v133, v68, v73
	s_waitcnt lgkmcnt(12)
	v_mul_f32_e32 v137, v44, v75
	v_fma_f32 v135, v68, v72, -v34
	s_waitcnt vmcnt(0)
	v_mul_f32_e32 v34, v71, v53
	v_mul_f32_e32 v120, v70, v53
	v_fmac_f32_e32 v133, v69, v72
	v_mul_f32_e32 v121, v46, v55
	v_fmac_f32_e32 v137, v45, v74
	v_fma_f32 v34, v70, v52, -v34
	v_fmac_f32_e32 v120, v71, v52
	global_load_dwordx4 v[68:71], v20, s[2:3] offset:32
	v_fmac_f32_e32 v121, v47, v54
	buffer_store_dword v34, off, s[20:23], 0 offset:420 ; 4-byte Folded Spill
	v_mul_f32_e32 v34, v45, v75
	v_fma_f32 v129, v44, v74, -v34
	v_mul_f32_e32 v34, v47, v55
	v_fma_f32 v119, v46, v54, -v34
	global_load_dwordx4 v[44:47], v21, s[2:3] offset:32
	s_waitcnt vmcnt(1) lgkmcnt(11)
	v_mul_f32_e32 v34, v65, v69
	v_mul_f32_e32 v186, v64, v69
	s_waitcnt lgkmcnt(10)
	v_mul_f32_e32 v232, v30, v71
	v_fma_f32 v184, v64, v68, -v34
	v_fmac_f32_e32 v186, v65, v68
	v_fmac_f32_e32 v232, v31, v70
	s_waitcnt vmcnt(0)
	v_mul_f32_e32 v34, v67, v45
	v_mul_f32_e32 v150, v66, v45
	v_mul_f32_e32 v151, v32, v47
	v_fma_f32 v122, v66, v44, -v34
	v_mul_f32_e32 v34, v31, v71
	v_fmac_f32_e32 v150, v67, v44
	global_load_dwordx4 v[64:67], v20, s[2:3] offset:48
	v_fmac_f32_e32 v151, v33, v46
	v_fma_f32 v234, v30, v70, -v34
	v_mul_f32_e32 v30, v33, v47
	v_fma_f32 v123, v32, v46, -v30
	global_load_dwordx4 v[32:35], v21, s[2:3] offset:48
	s_waitcnt vmcnt(1) lgkmcnt(9)
	v_mul_f32_e32 v30, v77, v65
	v_mul_f32_e32 v236, v76, v65
	s_waitcnt lgkmcnt(8)
	v_mul_f32_e32 v240, v36, v67
	v_fma_f32 v238, v76, v64, -v30
	v_fmac_f32_e32 v236, v77, v64
	v_fmac_f32_e32 v240, v37, v66
	s_waitcnt vmcnt(0)
	v_mul_f32_e32 v30, v79, v33
	v_mul_f32_e32 v154, v78, v33
	v_mul_f32_e32 v155, v38, v35
	v_fma_f32 v152, v78, v32, -v30
	v_mul_f32_e32 v30, v37, v67
	v_fmac_f32_e32 v154, v79, v32
	global_load_dwordx4 v[76:79], v20, s[2:3] offset:64
	v_fmac_f32_e32 v155, v39, v34
	;; [unrolled: 21-line block ×4, first 2 shown]
	v_fma_f32 v230, v60, v94, -v30
	v_mul_f32_e32 v30, v63, v43
	v_add_f32_e32 v229, v184, v230
	v_fma_f32 v169, v62, v42, -v30
	global_load_dwordx4 v[60:63], v21, s[2:3] offset:96
	s_waitcnt vmcnt(1) lgkmcnt(3)
	v_mul_f32_e32 v30, v85, v81
	v_mul_f32_e32 v185, v84, v81
	s_waitcnt lgkmcnt(2)
	v_mul_f32_e32 v179, v56, v83
	v_fma_f32 v181, v84, v80, -v30
	v_fmac_f32_e32 v185, v85, v80
	v_fmac_f32_e32 v179, v57, v82
	s_waitcnt vmcnt(0)
	v_mul_f32_e32 v30, v87, v61
	v_mul_f32_e32 v172, v86, v61
	;; [unrolled: 1-line block ×3, first 2 shown]
	v_add_f32_e32 v225, v129, v181
	v_fma_f32 v171, v86, v60, -v30
	v_mul_f32_e32 v30, v57, v83
	v_fmac_f32_e32 v172, v87, v60
	global_load_dwordx4 v[84:87], v20, s[2:3] offset:112
	v_fmac_f32_e32 v174, v59, v62
	v_fma_f32 v182, v56, v82, -v30
	v_mul_f32_e32 v30, v59, v63
	v_fma_f32 v118, v58, v62, -v30
	global_load_dwordx4 v[56:59], v21, s[2:3] offset:112
	s_waitcnt vmcnt(1) lgkmcnt(1)
	v_mul_f32_e32 v20, v17, v85
	v_mul_f32_e32 v180, v16, v85
	s_waitcnt lgkmcnt(0)
	v_mul_f32_e32 v218, v0, v87
	v_fma_f32 v217, v16, v84, -v20
	v_mov_b32_e32 v20, v112
	v_fmac_f32_e32 v218, v1, v86
	v_fmac_f32_e32 v180, v17, v84
	s_waitcnt vmcnt(0)
	v_mul_f32_e32 v16, v19, v57
	v_mul_f32_e32 v176, v18, v57
	v_add_f32_e32 v125, v139, v218
	v_fma_f32 v117, v18, v56, -v16
	v_mul_f32_e32 v16, v1, v87
	v_mul_f32_e32 v1, v2, v59
	v_fmac_f32_e32 v176, v19, v56
	v_fma_f32 v216, v0, v86, -v16
	v_mul_f32_e32 v0, v3, v59
	v_fmac_f32_e32 v1, v3, v58
	v_fma_f32 v114, v2, v58, -v0
	v_and_b32_e32 v0, 0xff, v20
	v_add_f32_e32 v209, v141, v1
	v_mul_lo_u16 v0, v0, 37
	v_lshrrev_b16 v0, 8, v0
	v_sub_nc_u16 v2, v20, v0
	v_lshrrev_b16 v2, 1, v2
	v_and_b32_e32 v2, 0x7f, v2
	v_add_nc_u16 v0, v2, v0
	v_lshrrev_b16 v0, 2, v0
	v_mul_lo_u16 v0, v0, 7
	v_sub_nc_u16 v0, v20, v0
	buffer_store_dword v0, off, s[20:23], 0 offset:344 ; 4-byte Folded Spill
	v_lshlrev_b16 v0, 4, v0
	v_and_b32_e32 v0, 0xf0, v0
	v_lshlrev_b32_e32 v0, 3, v0
	s_clause 0x1
	global_load_dwordx4 v[16:19], v0, s[2:3]
	global_load_dwordx4 v[145:148], v0, s[2:3] offset:16
	s_waitcnt vmcnt(1)
	v_mul_f32_e32 v2, v13, v19
	v_mul_f32_e32 v30, v12, v19
	v_fma_f32 v3, v12, v18, -v2
	s_waitcnt vmcnt(0)
	v_mul_f32_e32 v2, v15, v146
	v_fmac_f32_e32 v30, v13, v18
	v_fma_f32 v2, v14, v145, -v2
	buffer_store_dword v2, off, s[20:23], 0 offset:348 ; 4-byte Folded Spill
	v_mul_f32_e32 v2, v14, v146
	v_fmac_f32_e32 v2, v15, v145
	buffer_store_dword v2, off, s[20:23], 0 offset:352 ; 4-byte Folded Spill
	v_mul_f32_e32 v2, v5, v148
	v_fma_f32 v2, v4, v147, -v2
	buffer_store_dword v2, off, s[20:23], 0 offset:360 ; 4-byte Folded Spill
	v_mul_f32_e32 v2, v4, v148
	buffer_store_dword v145, off, s[20:23], 0 offset:676 ; 4-byte Folded Spill
	buffer_store_dword v146, off, s[20:23], 0 offset:680 ; 4-byte Folded Spill
	;; [unrolled: 1-line block ×4, first 2 shown]
	global_load_dwordx4 v[12:15], v0, s[2:3] offset:32
	v_fmac_f32_e32 v2, v5, v147
	s_waitcnt vmcnt(0)
	v_mul_f32_e32 v21, v6, v13
	buffer_store_dword v2, off, s[20:23], 0 offset:364 ; 4-byte Folded Spill
	v_mul_f32_e32 v2, v7, v13
	v_fmac_f32_e32 v21, v7, v12
	v_fma_f32 v2, v6, v12, -v2
	buffer_store_dword v2, off, s[20:23], 0 offset:368 ; 4-byte Folded Spill
	v_mul_f32_e32 v2, v9, v15
	v_fma_f32 v2, v8, v14, -v2
	v_mul_f32_e32 v8, v8, v15
	buffer_store_dword v2, off, s[20:23], 0 offset:356 ; 4-byte Folded Spill
	buffer_store_dword v12, off, s[20:23], 0 offset:660 ; 4-byte Folded Spill
	;; [unrolled: 1-line block ×5, first 2 shown]
	v_mov_b32_e32 v13, v3
	global_load_dwordx4 v[3:6], v0, s[2:3] offset:48
	v_fmac_f32_e32 v8, v9, v14
	v_mov_b32_e32 v14, v30
	s_waitcnt vmcnt(0)
	v_mul_f32_e32 v2, v11, v4
	v_mul_f32_e32 v12, v108, v6
	v_fma_f32 v9, v10, v3, -v2
	v_mul_f32_e32 v10, v10, v4
	v_mul_f32_e32 v2, v109, v6
	v_fmac_f32_e32 v10, v11, v3
	v_fma_f32 v11, v108, v5, -v2
	buffer_store_dword v3, off, s[20:23], 0 offset:628 ; 4-byte Folded Spill
	buffer_store_dword v4, off, s[20:23], 0 offset:632 ; 4-byte Folded Spill
	;; [unrolled: 1-line block ×4, first 2 shown]
	v_fmac_f32_e32 v12, v109, v5
	global_load_dwordx4 v[3:6], v0, s[2:3] offset:64
	s_waitcnt vmcnt(0)
	v_mul_f32_e32 v2, v111, v4
	v_mul_f32_e32 v15, v110, v4
	;; [unrolled: 1-line block ×3, first 2 shown]
	v_fma_f32 v2, v110, v3, -v2
	v_fmac_f32_e32 v15, v111, v3
	buffer_store_dword v2, off, s[20:23], 0 offset:384 ; 4-byte Folded Spill
	v_mul_f32_e32 v2, v23, v6
	v_fma_f32 v2, v22, v5, -v2
	buffer_store_dword v2, off, s[20:23], 0 offset:388 ; 4-byte Folded Spill
	buffer_store_dword v3, off, s[20:23], 0 offset:644 ; 4-byte Folded Spill
	;; [unrolled: 1-line block ×5, first 2 shown]
	v_fmac_f32_e32 v146, v23, v5
	global_load_dwordx4 v[3:6], v0, s[2:3] offset:80
	v_mov_b32_e32 v23, v8
	s_waitcnt vmcnt(0)
	v_mul_f32_e32 v2, v25, v4
	v_mul_f32_e32 v148, v24, v4
	;; [unrolled: 1-line block ×3, first 2 shown]
	v_fma_f32 v2, v24, v3, -v2
	v_fmac_f32_e32 v148, v25, v3
	v_mov_b32_e32 v24, v9
	v_mov_b32_e32 v25, v10
	buffer_store_dword v2, off, s[20:23], 0 offset:396 ; 4-byte Folded Spill
	v_mul_f32_e32 v2, v27, v6
	v_fma_f32 v2, v26, v5, -v2
	v_mov_b32_e32 v26, v11
	buffer_store_dword v2, off, s[20:23], 0 offset:372 ; 4-byte Folded Spill
	buffer_store_dword v3, off, s[20:23], 0 offset:692 ; 4-byte Folded Spill
	;; [unrolled: 1-line block ×5, first 2 shown]
	v_fmac_f32_e32 v158, v27, v5
	global_load_dwordx4 v[3:6], v0, s[2:3] offset:96
	v_mov_b32_e32 v27, v12
	v_add_f32_e32 v12, v102, v144
	s_waitcnt vmcnt(0)
	v_mul_f32_e32 v2, v29, v4
	v_mul_f32_e32 v164, v28, v4
	v_mul_f32_e32 v161, v104, v6
	v_fma_f32 v2, v28, v3, -v2
	v_fmac_f32_e32 v164, v29, v3
	buffer_store_dword v2, off, s[20:23], 0 offset:376 ; 4-byte Folded Spill
	v_mul_f32_e32 v2, v105, v6
	v_fma_f32 v2, v104, v5, -v2
	buffer_store_dword v2, off, s[20:23], 0 offset:380 ; 4-byte Folded Spill
	buffer_store_dword v3, off, s[20:23], 0 offset:708 ; 4-byte Folded Spill
	;; [unrolled: 1-line block ×5, first 2 shown]
	global_load_dwordx4 v[28:31], v0, s[2:3] offset:112
	v_add_f32_e32 v4, v143, v216
	buffer_store_dword v12, off, s[20:23], 0 offset:552 ; 4-byte Folded Spill
	v_add_f32_e32 v12, v103, v141
	buffer_store_dword v12, off, s[20:23], 0 offset:556 ; 4-byte Folded Spill
	v_fmac_f32_e32 v161, v105, v5
	s_waitcnt vmcnt(0)
	v_mul_f32_e32 v0, v107, v29
	v_mul_f32_e32 v22, v106, v29
	v_fma_f32 v0, v106, v28, -v0
	v_fmac_f32_e32 v22, v107, v28
	buffer_store_dword v0, off, s[20:23], 0 offset:392 ; 4-byte Folded Spill
	v_sub_f32_e32 v0, v139, v218
	v_mul_f32_e32 v2, 0xbeb8f4ab, v0
	v_mul_f32_e32 v3, 0xbf2c7751, v0
	;; [unrolled: 1-line block ×8, first 2 shown]
	v_fma_f32 v160, 0x3f6eb680, v4, -v2
	v_fmac_f32_e32 v2, 0x3f6eb680, v4
	v_fma_f32 v159, 0x3f3d2fb0, v4, -v3
	v_fmac_f32_e32 v3, 0x3f3d2fb0, v4
	;; [unrolled: 2-line block ×8, first 2 shown]
	v_sub_f32_e32 v4, v143, v216
	v_add_f32_e32 v2, v100, v2
	v_add_f32_e32 v223, v100, v160
	;; [unrolled: 1-line block ×4, first 2 shown]
	v_mul_f32_e32 v5, 0xbeb8f4ab, v4
	v_mul_f32_e32 v6, 0xbf2c7751, v4
	;; [unrolled: 1-line block ×8, first 2 shown]
	v_fmamk_f32 v207, v125, 0x3f6eb680, v5
	v_fma_f32 v196, 0x3f6eb680, v125, -v5
	v_fmamk_f32 v162, v125, 0x3f3d2fb0, v6
	v_fma_f32 v206, 0x3f3d2fb0, v125, -v6
	;; [unrolled: 2-line block ×3, first 2 shown]
	v_sub_f32_e32 v4, v141, v1
	v_fmamk_f32 v205, v125, 0x3ee437d1, v7
	v_fma_f32 v204, 0x3ee437d1, v125, -v7
	v_fmamk_f32 v203, v125, 0x3dbcf732, v8
	v_fma_f32 v202, 0x3dbcf732, v125, -v8
	;; [unrolled: 2-line block ×5, first 2 shown]
	v_mul_f32_e32 v5, 0xbeb8f4ab, v4
	v_mul_f32_e32 v6, 0xbf2c7751, v4
	;; [unrolled: 1-line block ×8, first 2 shown]
	v_add_f32_e32 v125, v144, v114
	buffer_store_dword v2, off, s[20:23], 0 offset:560 ; 4-byte Folded Spill
	v_add_f32_e32 v2, v101, v196
	v_add_f32_e32 v224, v101, v207
	;; [unrolled: 1-line block ×3, first 2 shown]
	v_fma_f32 v126, 0x3f6eb680, v125, -v5
	v_fmac_f32_e32 v5, 0x3f6eb680, v125
	v_fma_f32 v128, 0x3f3d2fb0, v125, -v6
	v_fmac_f32_e32 v6, 0x3f3d2fb0, v125
	v_fma_f32 v163, 0x3ee437d1, v125, -v7
	v_fmac_f32_e32 v7, 0x3ee437d1, v125
	v_fma_f32 v173, 0x3dbcf732, v125, -v8
	v_fmac_f32_e32 v8, 0x3dbcf732, v125
	v_fma_f32 v175, 0xbe8c1d8e, v125, -v9
	v_fmac_f32_e32 v9, 0xbe8c1d8e, v125
	v_fma_f32 v183, 0xbf1a4643, v125, -v10
	v_fmac_f32_e32 v10, 0xbf1a4643, v125
	v_fma_f32 v187, 0xbf59a7d5, v125, -v11
	v_fmac_f32_e32 v11, 0xbf59a7d5, v125
	v_fma_f32 v188, 0xbf7ba420, v125, -v4
	v_fmac_f32_e32 v4, 0xbf7ba420, v125
	v_sub_f32_e32 v125, v144, v114
	v_add_f32_e32 v144, v100, v0
	v_add_f32_e32 v0, v100, v106
	buffer_store_dword v2, off, s[20:23], 0 offset:564 ; 4-byte Folded Spill
	v_add_f32_e32 v2, v100, v3
	v_mul_f32_e32 v190, 0xbeb8f4ab, v125
	v_mul_f32_e32 v191, 0xbf2c7751, v125
	buffer_store_dword v0, off, s[20:23], 0 offset:588 ; 4-byte Folded Spill
	v_add_f32_e32 v0, v101, v200
	v_mul_f32_e32 v192, 0xbf65296c, v125
	v_fmamk_f32 v210, v209, 0x3f6eb680, v190
	v_fma_f32 v190, 0x3f6eb680, v209, -v190
	v_fmamk_f32 v211, v209, 0x3f3d2fb0, v191
	buffer_store_dword v0, off, s[20:23], 0 offset:584 ; 4-byte Folded Spill
	v_add_f32_e32 v0, v100, v107
	v_fma_f32 v191, 0x3f3d2fb0, v209, -v191
	v_fmamk_f32 v212, v209, 0x3ee437d1, v192
	v_fma_f32 v192, 0x3ee437d1, v209, -v192
	v_mul_f32_e32 v194, 0xbf7ee86f, v125
	buffer_store_dword v0, off, s[20:23], 0 offset:608 ; 4-byte Folded Spill
	v_add_f32_e32 v0, v101, v197
	v_mul_f32_e32 v195, 0xbf763a35, v125
	v_mul_f32_e32 v198, 0xbf4c4adb, v125
	v_fmamk_f32 v213, v209, 0x3dbcf732, v194
	v_fma_f32 v194, 0x3dbcf732, v209, -v194
	buffer_store_dword v0, off, s[20:23], 0 offset:604 ; 4-byte Folded Spill
	v_add_f32_e32 v0, v100, v108
	v_fmamk_f32 v214, v209, 0xbe8c1d8e, v195
	v_fma_f32 v195, 0xbe8c1d8e, v209, -v195
	v_fmamk_f32 v215, v209, 0xbf1a4643, v198
	v_fma_f32 v198, 0xbf1a4643, v209, -v198
	buffer_store_dword v0, off, s[20:23], 0 offset:600 ; 4-byte Folded Spill
	v_add_f32_e32 v0, v101, v124
	v_mul_f32_e32 v208, 0xbf06c442, v125
	v_mul_f32_e32 v125, 0xbe3c28d5, v125
	buffer_store_dword v2, off, s[20:23], 0 offset:580 ; 4-byte Folded Spill
	v_add_f32_e32 v2, v101, v206
	buffer_store_dword v0, off, s[20:23], 0 offset:596 ; 4-byte Folded Spill
	v_add_f32_e32 v0, v100, v112
	v_fmamk_f32 v220, v209, 0xbf59a7d5, v208
	v_fma_f32 v208, 0xbf59a7d5, v209, -v208
	v_fmamk_f32 v221, v209, 0xbf7ba420, v125
	buffer_store_dword v2, off, s[20:23], 0 offset:576 ; 4-byte Folded Spill
	buffer_store_dword v0, off, s[20:23], 0 offset:624 ; 4-byte Folded Spill
	v_add_f32_e32 v0, v101, v113
	v_add_f32_e32 v2, v100, v104
	v_fma_f32 v125, 0xbf7ba420, v209, -v125
	v_add_f32_e32 v209, v100, v143
	v_add_f32_e32 v162, v101, v162
	buffer_store_dword v0, off, s[20:23], 0 offset:620 ; 4-byte Folded Spill
	v_add_f32_e32 v0, v100, v109
	buffer_store_dword v2, off, s[20:23], 0 offset:572 ; 4-byte Folded Spill
	v_add_f32_e32 v2, v101, v204
	v_add_f32_e32 v159, v101, v205
	v_add_f32_e32 v147, v101, v203
	buffer_store_dword v0, off, s[20:23], 0 offset:616 ; 4-byte Folded Spill
	v_add_f32_e32 v0, v101, v219
	buffer_store_dword v2, off, s[20:23], 0 offset:568 ; 4-byte Folded Spill
	v_add_f32_e32 v2, v100, v105
	;; [unrolled: 6-line block ×3, first 2 shown]
	v_add_f32_e32 v141, v100, v111
	v_add_f32_e32 v139, v101, v199
	buffer_store_dword v0, off, s[20:23], 0 offset:548 ; 4-byte Folded Spill
	v_add_f32_e32 v0, v103, v210
	v_add_f32_e32 v2, v2, v133
	;; [unrolled: 1-line block ×4, first 2 shown]
	v_sub_f32_e32 v3, v131, v217
	buffer_store_dword v0, off, s[20:23], 0 offset:544 ; 4-byte Folded Spill
	v_add_f32_e32 v0, v102, v5
	v_add_f32_e32 v2, v2, v137
	;; [unrolled: 1-line block ×3, first 2 shown]
	v_mul_f32_e32 v107, 0xbf2c7751, v3
	v_mov_b32_e32 v197, 0x77
	buffer_store_dword v0, off, s[20:23], 0 offset:424 ; 4-byte Folded Spill
	v_add_f32_e32 v0, v103, v190
	v_add_f32_e32 v2, v2, v186
	v_mul_f32_e32 v113, 0x3f06c442, v3
	buffer_store_dword v0, off, s[20:23], 0 offset:428 ; 4-byte Folded Spill
	v_add_f32_e32 v0, v102, v128
	v_add_f32_e32 v2, v2, v232
	buffer_store_dword v0, off, s[20:23], 0 offset:540 ; 4-byte Folded Spill
	v_add_f32_e32 v0, v103, v211
	v_add_f32_e32 v2, v2, v236
	;; [unrolled: 3-line block ×9, first 2 shown]
	v_sub_f32_e32 v179, v133, v179
	v_sub_f32_e32 v133, v236, v237
	v_add_f32_e32 v236, v236, v237
	buffer_store_dword v0, off, s[20:23], 0 offset:524 ; 4-byte Folded Spill
	v_add_f32_e32 v0, v103, v213
	v_add_f32_e32 v2, v2, v180
	;; [unrolled: 1-line block ×3, first 2 shown]
	v_mul_f32_e32 v213, 0x3f65296c, v133
	v_mul_f32_e32 v250, 0xbf7ee86f, v133
	buffer_store_dword v0, off, s[20:23], 0 offset:520 ; 4-byte Folded Spill
	v_add_f32_e32 v0, v102, v8
	v_add_f32_e32 v101, v2, v218
	;; [unrolled: 1-line block ×3, first 2 shown]
	v_sub_f32_e32 v180, v127, v180
	v_sub_f32_e32 v127, v135, v182
	buffer_store_dword v0, off, s[20:23], 0 offset:460 ; 4-byte Folded Spill
	v_add_f32_e32 v0, v103, v194
	v_fmamk_f32 v2, v218, 0x3f3d2fb0, v107
	v_mul_f32_e32 v244, 0xbf4c4adb, v180
	v_mul_f32_e32 v106, 0xbf65296c, v127
	;; [unrolled: 1-line block ×3, first 2 shown]
	buffer_store_dword v0, off, s[20:23], 0 offset:456 ; 4-byte Folded Spill
	v_add_f32_e32 v0, v102, v175
	v_add_f32_e32 v2, v2, v224
	;; [unrolled: 1-line block ×3, first 2 shown]
	v_mul_f32_e32 v191, 0x3f4c4adb, v133
	v_mul_f32_e32 v128, 0xbeb8f4ab, v133
	buffer_store_dword v0, off, s[20:23], 0 offset:516 ; 4-byte Folded Spill
	v_add_f32_e32 v0, v103, v214
	v_mul_f32_e32 v136, 0xbe3c28d5, v133
	v_mul_f32_e32 v145, 0x3f65296c, v180
	buffer_store_dword v0, off, s[20:23], 0 offset:512 ; 4-byte Folded Spill
	v_add_f32_e32 v0, v102, v9
	v_mul_f32_e32 v9, 0x3f763a35, v3
	buffer_store_dword v0, off, s[20:23], 0 offset:452 ; 4-byte Folded Spill
	v_add_f32_e32 v0, v103, v195
	;; [unrolled: 3-line block ×3, first 2 shown]
	buffer_store_dword v0, off, s[20:23], 0 offset:508 ; 4-byte Folded Spill
	v_add_f32_e32 v0, v103, v215
	buffer_store_dword v0, off, s[20:23], 0 offset:504 ; 4-byte Folded Spill
	v_add_f32_e32 v0, v102, v10
	v_mul_f32_e32 v10, 0xbeb8f4ab, v179
	buffer_store_dword v0, off, s[20:23], 0 offset:476 ; 4-byte Folded Spill
	v_add_f32_e32 v0, v103, v198
	buffer_store_dword v0, off, s[20:23], 0 offset:472 ; 4-byte Folded Spill
	v_add_f32_e32 v0, v102, v187
	;; [unrolled: 2-line block ×3, first 2 shown]
	v_mul_f32_e32 v220, 0xbf2c7751, v180
	buffer_store_dword v0, off, s[20:23], 0 offset:496 ; 4-byte Folded Spill
	v_add_f32_e32 v0, v102, v11
	v_mul_f32_e32 v11, 0xbeb8f4ab, v127
	buffer_store_dword v0, off, s[20:23], 0 offset:468 ; 4-byte Folded Spill
	v_add_f32_e32 v0, v103, v208
	buffer_store_dword v0, off, s[20:23], 0 offset:464 ; 4-byte Folded Spill
	v_add_f32_e32 v0, v102, v188
	;; [unrolled: 2-line block ×3, first 2 shown]
	v_mul_f32_e32 v221, 0xbf65296c, v179
	buffer_store_dword v0, off, s[20:23], 0 offset:484 ; 4-byte Folded Spill
	v_add_f32_e32 v0, v102, v4
	buffer_store_dword v0, off, s[20:23], 0 offset:480 ; 4-byte Folded Spill
	v_add_f32_e32 v0, v103, v125
	;; [unrolled: 2-line block ×3, first 2 shown]
	s_waitcnt_vscnt null, 0x0
	s_barrier
	buffer_gl0_inv
	buffer_store_dword v189, off, s[20:23], 0 offset:4 ; 4-byte Folded Spill
	v_add_f32_e32 v0, v0, v135
	v_add_f32_e32 v0, v0, v129
	;; [unrolled: 1-line block ×3, first 2 shown]
	v_sub_f32_e32 v184, v184, v230
	v_add_f32_e32 v0, v0, v234
	v_mul_f32_e32 v104, 0xbf763a35, v184
	v_mul_f32_e32 v210, 0x3f06c442, v184
	;; [unrolled: 1-line block ×4, first 2 shown]
	v_add_f32_e32 v0, v0, v238
	v_mul_f32_e32 v130, 0x3f7ee86f, v184
	v_add_f32_e32 v0, v0, v242
	v_add_f32_e32 v0, v0, v243
	;; [unrolled: 1-line block ×6, first 2 shown]
	v_sub_f32_e32 v181, v129, v181
	v_sub_f32_e32 v129, v232, v233
	v_add_f32_e32 v232, v232, v233
	v_add_f32_e32 v233, v234, v235
	;; [unrolled: 1-line block ×3, first 2 shown]
	v_mul_f32_e32 v105, 0xbf7ee86f, v181
	v_mul_f32_e32 v208, 0xbe3c28d5, v181
	;; [unrolled: 1-line block ×4, first 2 shown]
	v_add_f32_e32 v0, v0, v217
	v_mul_f32_e32 v248, 0xbeb8f4ab, v129
	v_mul_f32_e32 v227, 0xbf06c442, v129
	;; [unrolled: 1-line block ×4, first 2 shown]
	v_add_f32_e32 v100, v0, v216
	v_add_f32_e32 v216, v131, v217
	;; [unrolled: 1-line block ×3, first 2 shown]
	v_sub_f32_e32 v182, v137, v185
	v_sub_f32_e32 v185, v186, v228
	v_add_f32_e32 v228, v186, v228
	v_fma_f32 v0, 0x3f3d2fb0, v216, -v220
	v_fma_f32 v4, 0x3ee437d1, v217, -v221
	v_mul_f32_e32 v226, 0xbf7ee86f, v182
	v_mul_f32_e32 v230, 0xbf763a35, v185
	v_sub_f32_e32 v186, v234, v235
	v_add_f32_e32 v0, v0, v223
	v_mul_f32_e32 v234, 0xbf4c4adb, v129
	v_sub_f32_e32 v131, v238, v239
	v_mul_f32_e32 v238, 0xbf06c442, v133
	v_mul_f32_e32 v235, 0xbf4c4adb, v186
	v_add_f32_e32 v0, v4, v0
	v_fmamk_f32 v4, v219, 0x3ee437d1, v106
	v_mul_f32_e32 v239, 0xbf06c442, v131
	v_sub_f32_e32 v135, v240, v241
	v_add_f32_e32 v240, v240, v241
	v_add_f32_e32 v241, v242, v243
	;; [unrolled: 1-line block ×3, first 2 shown]
	v_fma_f32 v4, 0x3dbcf732, v225, -v226
	v_sub_f32_e32 v137, v242, v243
	v_mul_f32_e32 v242, 0xbe3c28d5, v135
	v_mul_f32_e32 v198, 0xbe3c28d5, v182
	v_mul_f32_e32 v209, 0x3f06c442, v185
	v_add_f32_e32 v0, v4, v0
	v_fmamk_f32 v4, v224, 0x3dbcf732, v105
	v_mul_f32_e32 v243, 0xbe3c28d5, v137
	v_mul_f32_e32 v212, 0x3f763a35, v186
	v_mul_f32_e32 v215, 0x3f65296c, v131
	v_mul_f32_e32 v214, 0x3eb8f4ab, v135
	v_add_f32_e32 v2, v4, v2
	v_fma_f32 v4, 0xbe8c1d8e, v229, -v230
	v_mul_f32_e32 v245, 0x3eb8f4ab, v137
	v_mul_f32_e32 v247, 0x3f763a35, v182
	v_mul_f32_e32 v249, 0xbeb8f4ab, v186
	v_mul_f32_e32 v252, 0xbf7ee86f, v131
	v_add_f32_e32 v0, v4, v0
	v_fmamk_f32 v4, v228, 0xbe8c1d8e, v104
	v_mul_f32_e32 v251, 0xbf06c442, v135
	v_mul_f32_e32 v253, 0xbf06c442, v137
	v_mul_f32_e32 v222, 0xbf65296c, v185
	v_mul_f32_e32 v223, 0xbf65296c, v184
	v_add_f32_e32 v2, v4, v2
	v_fma_f32 v4, 0xbf1a4643, v233, -v234
	v_mul_f32_e32 v231, 0xbf06c442, v186
	;; [unrolled: 12-line block ×3, first 2 shown]
	v_mul_f32_e32 v188, 0xbf4c4adb, v137
	v_mul_f32_e32 v132, 0xbf2c7751, v129
	;; [unrolled: 1-line block ×3, first 2 shown]
	v_add_f32_e32 v0, v4, v0
	v_fmamk_f32 v4, v236, 0xbf59a7d5, v239
	v_mul_f32_e32 v138, 0xbe3c28d5, v131
	v_mul_f32_e32 v140, 0x3f65296c, v135
	;; [unrolled: 1-line block ×3, first 2 shown]
	v_fmac_f32_e32 v220, 0x3f3d2fb0, v216
	v_add_f32_e32 v2, v4, v2
	v_fma_f32 v4, 0xbf7ba420, v241, -v242
	v_fmac_f32_e32 v221, 0x3ee437d1, v217
	v_fmac_f32_e32 v226, 0x3dbcf732, v225
	;; [unrolled: 1-line block ×4, first 2 shown]
	v_add_f32_e32 v102, v4, v0
	v_fmamk_f32 v0, v240, 0xbf7ba420, v243
	v_fmac_f32_e32 v238, 0xbf59a7d5, v237
	v_fmac_f32_e32 v242, 0xbf7ba420, v241
	v_add_f32_e32 v103, v0, v2
	v_mul_u32_u24_sdwa v0, v177, v197 dst_sel:DWORD dst_unused:UNUSED_PAD src0_sel:WORD_0 src1_sel:DWORD
	v_mul_f32_e32 v177, 0xbf7ee86f, v180
	v_add_nc_u32_sdwa v0, v0, v178 dst_sel:DWORD dst_unused:UNUSED_PAD src0_sel:DWORD src1_sel:BYTE_0
	v_mul_f32_e32 v178, 0xbf7ee86f, v3
	v_lshl_add_u32 v2, v0, 3, v189
	v_fmamk_f32 v4, v218, 0x3dbcf732, v178
	v_fma_f32 v0, 0x3dbcf732, v216, -v177
	v_mul_f32_e32 v189, 0x3f7ee86f, v185
	v_fmac_f32_e32 v177, 0x3dbcf732, v216
	ds_write2_b64 v2, v[100:101], v[102:103] offset1:7
	v_add_f32_e32 v4, v4, v162
	v_mul_f32_e32 v162, 0xbf4c4adb, v179
	v_add_f32_e32 v0, v0, v196
	v_mul_f32_e32 v196, 0xbf4c4adb, v127
	v_mul_f32_e32 v100, 0xbe3c28d5, v180
	v_mul_f32_e32 v101, 0xbe3c28d5, v3
	v_fma_f32 v5, 0xbf1a4643, v217, -v162
	v_mul_f32_e32 v102, 0x3f763a35, v179
	v_mul_f32_e32 v103, 0x3f763a35, v127
	v_fmac_f32_e32 v162, 0xbf1a4643, v217
	v_add_f32_e32 v0, v5, v0
	v_fmamk_f32 v5, v219, 0xbf1a4643, v196
	v_add_f32_e32 v4, v5, v4
	v_fma_f32 v5, 0xbf7ba420, v225, -v198
	v_fmac_f32_e32 v198, 0xbf7ba420, v225
	v_add_f32_e32 v0, v5, v0
	v_fmamk_f32 v5, v224, 0xbf7ba420, v208
	v_add_f32_e32 v4, v5, v4
	v_fma_f32 v5, 0xbf59a7d5, v229, -v209
	;; [unrolled: 5-line block ×6, first 2 shown]
	v_fmac_f32_e32 v244, 0xbf1a4643, v216
	v_add_f32_e32 v0, v0, v160
	v_mul_f32_e32 v160, 0xbf4c4adb, v3
	v_fmamk_f32 v6, v218, 0xbf1a4643, v160
	v_add_f32_e32 v6, v6, v159
	v_mul_f32_e32 v159, 0x3e3c28d5, v179
	v_fma_f32 v7, 0xbf7ba420, v217, -v159
	v_fmac_f32_e32 v159, 0xbf7ba420, v217
	v_add_f32_e32 v0, v7, v0
	v_fmamk_f32 v7, v219, 0xbf7ba420, v246
	v_add_f32_e32 v6, v7, v6
	v_fma_f32 v7, 0xbe8c1d8e, v225, -v247
	v_fmac_f32_e32 v247, 0xbe8c1d8e, v225
	v_add_f32_e32 v7, v7, v0
	v_fmamk_f32 v0, v224, 0xbe8c1d8e, v163
	v_add_f32_e32 v6, v0, v6
	v_mul_f32_e32 v0, 0x3f2c7751, v185
	v_fma_f32 v8, 0x3f3d2fb0, v229, -v0
	v_fmac_f32_e32 v0, 0x3f3d2fb0, v229
	v_add_f32_e32 v7, v8, v7
	v_fmamk_f32 v8, v228, 0x3f3d2fb0, v190
	v_add_f32_e32 v6, v8, v6
	v_fma_f32 v8, 0x3f6eb680, v233, -v248
	v_fmac_f32_e32 v248, 0x3f6eb680, v233
	v_add_f32_e32 v7, v8, v7
	v_fmamk_f32 v8, v232, 0x3f6eb680, v249
	v_add_f32_e32 v6, v8, v6
	;; [unrolled: 5-line block ×4, first 2 shown]
	ds_write2_b64 v2, v[4:5], v[6:7] offset0:14 offset1:21
	v_fma_f32 v4, 0xbf7ba420, v216, -v100
	v_fmamk_f32 v5, v218, 0xbf7ba420, v101
	v_fma_f32 v6, 0xbe8c1d8e, v217, -v102
	v_fmamk_f32 v7, v218, 0xbf59a7d5, v113
	v_fmac_f32_e32 v100, 0xbf7ba420, v216
	v_add_f32_e32 v4, v4, v149
	v_add_f32_e32 v5, v5, v147
	v_mul_f32_e32 v147, 0x3eb8f4ab, v182
	v_mul_f32_e32 v149, 0x3eb8f4ab, v181
	v_add_f32_e32 v7, v7, v143
	v_add_f32_e32 v4, v6, v4
	v_fmamk_f32 v6, v219, 0xbe8c1d8e, v103
	v_mul_f32_e32 v143, 0x3f2c7751, v179
	v_fmac_f32_e32 v102, 0xbe8c1d8e, v217
	v_add_f32_e32 v5, v6, v5
	v_fma_f32 v6, 0x3f6eb680, v225, -v147
	v_fma_f32 v8, 0x3f3d2fb0, v217, -v143
	v_fmac_f32_e32 v147, 0x3f6eb680, v225
	v_fmac_f32_e32 v143, 0x3f3d2fb0, v217
	v_add_f32_e32 v4, v6, v4
	v_fmamk_f32 v6, v224, 0x3f6eb680, v149
	v_add_f32_e32 v5, v6, v5
	v_fma_f32 v6, 0x3ee437d1, v229, -v222
	v_fmac_f32_e32 v222, 0x3ee437d1, v229
	v_add_f32_e32 v4, v6, v4
	v_fmamk_f32 v6, v228, 0x3ee437d1, v223
	v_add_f32_e32 v5, v6, v5
	v_fma_f32 v6, 0xbf59a7d5, v233, -v227
	;; [unrolled: 5-line block ×5, first 2 shown]
	v_fmac_f32_e32 v195, 0xbf59a7d5, v216
	v_add_f32_e32 v6, v6, v144
	v_mul_f32_e32 v144, 0x3f2c7751, v127
	v_add_f32_e32 v6, v8, v6
	v_fmamk_f32 v8, v219, 0x3f3d2fb0, v144
	v_add_f32_e32 v7, v8, v7
	v_fma_f32 v8, 0x3ee437d1, v225, -v124
	v_fmac_f32_e32 v124, 0x3ee437d1, v225
	v_add_f32_e32 v6, v8, v6
	v_fmamk_f32 v8, v224, 0x3ee437d1, v254
	v_add_f32_e32 v7, v8, v7
	v_fma_f32 v8, 0xbf7ba420, v229, -v173
	v_fmac_f32_e32 v173, 0xbf7ba420, v229
	;; [unrolled: 5-line block ×5, first 2 shown]
	v_add_f32_e32 v6, v8, v6
	v_fmamk_f32 v8, v240, 0xbf1a4643, v188
	v_add_f32_e32 v7, v8, v7
	v_mul_f32_e32 v8, 0x3f763a35, v180
	ds_write2_b64 v2, v[4:5], v[6:7] offset0:28 offset1:35
	v_fma_f32 v4, 0xbe8c1d8e, v216, -v8
	v_fmamk_f32 v5, v218, 0xbe8c1d8e, v9
	v_fma_f32 v6, 0x3f6eb680, v217, -v10
	v_fmac_f32_e32 v8, 0xbe8c1d8e, v216
	v_fmac_f32_e32 v10, 0x3f6eb680, v217
	v_add_f32_e32 v4, v4, v141
	v_add_f32_e32 v5, v5, v139
	v_mul_f32_e32 v139, 0xbf06c442, v182
	v_mul_f32_e32 v141, 0xbf06c442, v181
	v_add_f32_e32 v4, v6, v4
	v_fmamk_f32 v6, v219, 0x3f6eb680, v11
	v_add_f32_e32 v5, v6, v5
	v_fma_f32 v6, 0xbf59a7d5, v225, -v139
	v_fmac_f32_e32 v139, 0xbf59a7d5, v225
	v_add_f32_e32 v4, v6, v4
	v_fmamk_f32 v6, v224, 0xbf59a7d5, v141
	v_add_f32_e32 v5, v6, v5
	v_fma_f32 v6, 0x3dbcf732, v229, -v189
	v_fmac_f32_e32 v189, 0x3dbcf732, v229
	v_add_f32_e32 v4, v6, v4
	v_fmamk_f32 v6, v228, 0x3dbcf732, v130
	v_add_f32_e32 v5, v6, v5
	v_fma_f32 v6, 0x3f3d2fb0, v233, -v132
	v_fmac_f32_e32 v132, 0x3f3d2fb0, v233
	v_add_f32_e32 v4, v6, v4
	v_fmamk_f32 v6, v232, 0x3f3d2fb0, v134
	v_add_f32_e32 v5, v6, v5
	v_fma_f32 v6, 0xbf7ba420, v237, -v136
	v_fmac_f32_e32 v136, 0xbf7ba420, v237
	v_add_f32_e32 v4, v6, v4
	v_fmamk_f32 v6, v236, 0xbf7ba420, v138
	v_add_f32_e32 v5, v6, v5
	v_fma_f32 v6, 0x3ee437d1, v241, -v140
	v_fmac_f32_e32 v140, 0x3ee437d1, v241
	v_add_f32_e32 v4, v6, v4
	v_fmamk_f32 v6, v240, 0x3ee437d1, v142
	v_add_f32_e32 v5, v6, v5
	v_fma_f32 v6, 0x3ee437d1, v216, -v145
	v_fmac_f32_e32 v145, 0x3ee437d1, v216
	v_add_f32_e32 v6, v6, v110
	v_mul_f32_e32 v110, 0x3f65296c, v3
	v_fmamk_f32 v7, v218, 0x3ee437d1, v110
	v_add_f32_e32 v7, v7, v111
	v_mul_f32_e32 v111, 0xbf7ee86f, v179
	v_fma_f32 v207, 0x3dbcf732, v217, -v111
	v_fmac_f32_e32 v111, 0x3dbcf732, v217
	v_add_f32_e32 v6, v207, v6
	v_mul_f32_e32 v207, 0xbf7ee86f, v127
	v_mul_f32_e32 v127, 0xbf06c442, v127
	v_fmamk_f32 v206, v219, 0x3dbcf732, v207
	v_add_f32_e32 v7, v206, v7
	v_mul_f32_e32 v206, 0x3f4c4adb, v182
	v_fma_f32 v205, 0xbf1a4643, v225, -v206
	v_fmac_f32_e32 v206, 0xbf1a4643, v225
	v_add_f32_e32 v6, v205, v6
	v_mul_f32_e32 v205, 0x3f4c4adb, v181
	v_fmamk_f32 v204, v224, 0xbf1a4643, v205
	v_add_f32_e32 v7, v204, v7
	v_mul_f32_e32 v204, 0xbeb8f4ab, v185
	v_fma_f32 v203, 0x3f6eb680, v229, -v204
	v_fmac_f32_e32 v204, 0x3f6eb680, v229
	v_add_f32_e32 v6, v203, v6
	v_mul_f32_e32 v203, 0xbeb8f4ab, v184
	v_fmamk_f32 v202, v228, 0x3f6eb680, v203
	v_add_f32_e32 v7, v202, v7
	v_mul_f32_e32 v202, 0xbe3c28d5, v129
	v_mul_f32_e32 v129, 0x3f65296c, v129
	v_fma_f32 v201, 0xbf7ba420, v233, -v202
	v_fmac_f32_e32 v202, 0xbf7ba420, v233
	v_add_f32_e32 v6, v201, v6
	v_mul_f32_e32 v201, 0xbe3c28d5, v186
	v_fmamk_f32 v200, v232, 0xbf7ba420, v201
	v_add_f32_e32 v7, v200, v7
	v_mul_f32_e32 v200, 0x3f2c7751, v133
	v_mul_f32_e32 v133, 0xbf763a35, v133
	v_fma_f32 v199, 0x3f3d2fb0, v237, -v200
	v_fmac_f32_e32 v200, 0x3f3d2fb0, v237
	v_add_f32_e32 v6, v199, v6
	v_mul_f32_e32 v199, 0x3f2c7751, v131
	v_mul_f32_e32 v131, 0xbf763a35, v131
	v_fmamk_f32 v109, v236, 0x3f3d2fb0, v199
	v_add_f32_e32 v7, v109, v7
	v_mul_f32_e32 v109, 0xbf763a35, v135
	v_mul_f32_e32 v135, 0x3f7ee86f, v135
	v_fma_f32 v108, 0xbe8c1d8e, v241, -v109
	v_fmac_f32_e32 v109, 0xbe8c1d8e, v241
	v_add_f32_e32 v6, v108, v6
	v_mul_f32_e32 v108, 0xbf763a35, v137
	v_mul_f32_e32 v137, 0x3f7ee86f, v137
	v_fmamk_f32 v193, v240, 0xbe8c1d8e, v108
	v_add_f32_e32 v7, v193, v7
	ds_write2_b64 v2, v[4:5], v[6:7] offset0:42 offset1:49
	s_clause 0x1
	buffer_load_dword v6, off, s[20:23], 0 offset:624
	buffer_load_dword v7, off, s[20:23], 0 offset:620
	v_mul_f32_e32 v5, 0x3eb8f4ab, v180
	v_fma_f32 v4, 0x3f6eb680, v216, -v5
	v_fmac_f32_e32 v5, 0x3f6eb680, v216
	s_waitcnt vmcnt(1)
	v_add_f32_e32 v4, v4, v6
	v_mul_f32_e32 v6, 0x3eb8f4ab, v3
	v_fmamk_f32 v3, v218, 0x3f6eb680, v6
	v_fma_f32 v6, 0x3f6eb680, v218, -v6
	s_waitcnt vmcnt(0)
	v_add_f32_e32 v3, v3, v7
	v_mul_f32_e32 v7, 0xbf06c442, v179
	v_fma_f32 v179, 0xbf59a7d5, v217, -v7
	v_fmac_f32_e32 v7, 0xbf59a7d5, v217
	v_add_f32_e32 v4, v179, v4
	v_fmamk_f32 v179, v219, 0xbf59a7d5, v127
	v_add_f32_e32 v3, v179, v3
	v_mul_f32_e32 v179, 0x3f2c7751, v182
	v_fma_f32 v180, 0x3f3d2fb0, v225, -v179
	v_fmac_f32_e32 v179, 0x3f3d2fb0, v225
	v_add_f32_e32 v4, v180, v4
	v_mul_f32_e32 v180, 0x3f2c7751, v181
	v_fmamk_f32 v181, v224, 0x3f3d2fb0, v180
	v_add_f32_e32 v3, v181, v3
	v_mul_f32_e32 v181, 0xbf4c4adb, v185
	v_fma_f32 v182, 0xbf1a4643, v229, -v181
	v_fmac_f32_e32 v181, 0xbf1a4643, v229
	v_add_f32_e32 v4, v182, v4
	v_mul_f32_e32 v182, 0xbf4c4adb, v184
	v_fmamk_f32 v184, v228, 0xbf1a4643, v182
	v_add_f32_e32 v3, v184, v3
	v_fma_f32 v184, 0x3ee437d1, v233, -v129
	v_fmac_f32_e32 v129, 0x3ee437d1, v233
	v_add_f32_e32 v4, v184, v4
	v_mul_f32_e32 v184, 0x3f65296c, v186
	v_fmamk_f32 v185, v232, 0x3ee437d1, v184
	v_add_f32_e32 v3, v185, v3
	v_fma_f32 v185, 0xbe8c1d8e, v237, -v133
	v_fmac_f32_e32 v133, 0xbe8c1d8e, v237
	v_add_f32_e32 v4, v185, v4
	v_fmamk_f32 v185, v236, 0xbe8c1d8e, v131
	v_add_f32_e32 v185, v185, v3
	v_fma_f32 v3, 0x3dbcf732, v241, -v135
	v_fmac_f32_e32 v135, 0x3dbcf732, v241
	v_add_f32_e32 v3, v3, v4
	v_fmamk_f32 v4, v240, 0x3dbcf732, v137
	v_add_f32_e32 v4, v4, v185
	buffer_load_dword v185, off, s[20:23], 0 offset:616 ; 4-byte Folded Reload
	s_waitcnt vmcnt(0)
	v_add_f32_e32 v5, v5, v185
	buffer_load_dword v185, off, s[20:23], 0 offset:612 ; 4-byte Folded Reload
	v_add_f32_e32 v5, v7, v5
	v_fma_f32 v7, 0xbf59a7d5, v219, -v127
	v_add_f32_e32 v127, v152, v165
	v_add_f32_e32 v5, v179, v5
	v_sub_f32_e32 v179, v155, v157
	v_add_f32_e32 v5, v181, v5
	v_mul_f32_e32 v193, 0x3f2c7751, v179
	v_add_f32_e32 v5, v129, v5
	v_add_f32_e32 v5, v133, v5
	;; [unrolled: 1-line block ×5, first 2 shown]
	s_waitcnt vmcnt(0)
	v_add_f32_e32 v6, v6, v185
	v_add_f32_e32 v6, v7, v6
	v_fma_f32 v7, 0x3f3d2fb0, v224, -v180
	v_sub_f32_e32 v180, v153, v156
	v_add_f32_e32 v6, v7, v6
	v_fma_f32 v7, 0xbf1a4643, v228, -v182
	v_add_f32_e32 v6, v7, v6
	v_fma_f32 v7, 0x3ee437d1, v232, -v184
	;; [unrolled: 2-line block ×4, first 2 shown]
	v_mul_f32_e32 v137, 0xbe3c28d5, v179
	v_add_f32_e32 v6, v7, v6
	buffer_load_dword v7, off, s[20:23], 0 offset:596 ; 4-byte Folded Reload
	ds_write2_b64 v2, v[3:4], v[5:6] offset0:56 offset1:63
	buffer_load_dword v5, off, s[20:23], 0 offset:604 ; 4-byte Folded Reload
	v_fma_f32 v4, 0xbe8c1d8e, v218, -v9
	buffer_load_dword v3, off, s[20:23], 0 offset:608 ; 4-byte Folded Reload
	v_fma_f32 v6, 0x3ee437d1, v218, -v110
	s_waitcnt vmcnt(2)
	v_add_f32_e32 v6, v6, v7
	v_fma_f32 v7, 0x3dbcf732, v219, -v207
	v_mul_f32_e32 v207, 0xbf4c4adb, v179
	s_waitcnt vmcnt(1)
	v_add_f32_e32 v4, v4, v5
	v_fma_f32 v5, 0x3f6eb680, v219, -v11
	v_add_f32_e32 v6, v7, v6
	v_fma_f32 v7, 0xbf1a4643, v224, -v205
	;; [unrolled: 2-line block ×10, first 2 shown]
	v_add_f32_e32 v108, v121, v172
	v_add_f32_e32 v4, v5, v4
	v_fma_f32 v5, 0x3ee437d1, v240, -v142
	v_add_f32_e32 v6, v7, v6
	buffer_load_dword v7, off, s[20:23], 0 offset:568 ; 4-byte Folded Reload
	v_add_f32_e32 v4, v5, v4
	buffer_load_dword v5, off, s[20:23], 0 offset:600 ; 4-byte Folded Reload
	s_waitcnt vmcnt(2)
	v_add_f32_e32 v3, v8, v3
	v_add_f32_e32 v3, v10, v3
	;; [unrolled: 1-line block ×3, first 2 shown]
	v_mul_f32_e32 v139, 0xbe3c28d5, v180
	v_add_f32_e32 v3, v189, v3
	v_mul_f32_e32 v189, 0x3f65296c, v179
	v_add_f32_e32 v3, v132, v3
	v_add_f32_e32 v3, v136, v3
	;; [unrolled: 1-line block ×3, first 2 shown]
	s_waitcnt vmcnt(0)
	v_add_f32_e32 v5, v145, v5
	v_add_f32_e32 v5, v111, v5
	;; [unrolled: 1-line block ×8, first 2 shown]
	ds_write2_b64 v2, v[5:6], v[3:4] offset0:70 offset1:77
	v_fma_f32 v4, 0xbf7ba420, v218, -v101
	v_fma_f32 v5, 0xbe8c1d8e, v219, -v103
	buffer_load_dword v3, off, s[20:23], 0 offset:592 ; 4-byte Folded Reload
	v_fma_f32 v6, 0xbf1a4643, v218, -v160
	v_add_f32_e32 v4, v4, v12
	buffer_load_dword v12, off, s[20:23], 0 offset:4 ; 4-byte Folded Reload
	v_add_f32_e32 v6, v6, v7
	v_fma_f32 v7, 0xbf7ba420, v219, -v246
	v_add_f32_e32 v4, v5, v4
	v_fma_f32 v5, 0x3f6eb680, v224, -v149
	;; [unrolled: 2-line block ×8, first 2 shown]
	v_mul_f32_e32 v112, 0xbf06c442, v180
	v_add_f32_e32 v101, v5, v4
	buffer_load_dword v5, off, s[20:23], 0 offset:584 ; 4-byte Folded Reload
	v_fma_f32 v4, 0xbf59a7d5, v218, -v113
	s_waitcnt vmcnt(2)
	v_add_f32_e32 v3, v100, v3
	v_add_f32_e32 v3, v102, v3
	;; [unrolled: 1-line block ×7, first 2 shown]
	buffer_load_dword v3, off, s[20:23], 0 offset:588 ; 4-byte Folded Reload
	s_waitcnt vmcnt(1)
	v_add_f32_e32 v4, v4, v5
	v_fma_f32 v5, 0x3f3d2fb0, v219, -v144
	v_add_f32_e32 v4, v5, v4
	v_fma_f32 v5, 0x3ee437d1, v224, -v254
	;; [unrolled: 2-line block ×3, first 2 shown]
	v_sub_f32_e32 v175, v123, v167
	v_add_f32_e32 v4, v5, v4
	v_fma_f32 v5, 0x3dbcf732, v232, -v125
	v_mul_f32_e32 v191, 0xbf06c442, v175
	v_mul_f32_e32 v205, 0x3f7ee86f, v175
	;; [unrolled: 1-line block ×3, first 2 shown]
	v_add_f32_e32 v4, v5, v4
	v_fma_f32 v5, 0x3f6eb680, v236, -v187
	v_add_f32_e32 v4, v5, v4
	v_fma_f32 v5, 0xbf1a4643, v240, -v188
	v_add_f32_e32 v103, v5, v4
	buffer_load_dword v5, off, s[20:23], 0 offset:576 ; 4-byte Folded Reload
	v_fma_f32 v4, 0x3dbcf732, v218, -v178
	v_sub_f32_e32 v178, v154, v166
	v_mul_f32_e32 v129, 0xbf06c442, v178
	v_mul_f32_e32 v192, 0x3f4c4adb, v178
	;; [unrolled: 1-line block ×4, first 2 shown]
	s_waitcnt vmcnt(1)
	v_add_f32_e32 v3, v195, v3
	v_add_f32_e32 v3, v143, v3
	;; [unrolled: 1-line block ×3, first 2 shown]
	v_sub_f32_e32 v124, v116, v176
	v_add_f32_e32 v3, v173, v3
	v_sub_f32_e32 v173, v121, v172
	v_mul_f32_e32 v181, 0xbe3c28d5, v124
	v_mul_f32_e32 v195, 0x3f06c442, v124
	v_add_f32_e32 v3, v126, v3
	v_sub_f32_e32 v126, v120, v174
	v_mul_f32_e32 v110, 0xbf7ee86f, v173
	v_mul_f32_e32 v185, 0x3eb8f4ab, v173
	;; [unrolled: 1-line block ×3, first 2 shown]
	v_add_f32_e32 v3, v128, v3
	v_sub_f32_e32 v128, v119, v171
	v_mul_f32_e32 v10, 0xbeb8f4ab, v126
	v_mul_f32_e32 v130, 0xbf06c442, v173
	v_add_f32_e32 v102, v183, v3
	buffer_load_dword v3, off, s[20:23], 0 offset:580 ; 4-byte Folded Reload
	v_mul_f32_e32 v111, 0xbf7ee86f, v128
	v_mul_f32_e32 v163, 0x3f763a35, v128
	;; [unrolled: 1-line block ×3, first 2 shown]
	ds_write2_b64 v2, v[102:103], v[100:101] offset0:84 offset1:91
	v_mul_f32_e32 v102, 0xbf2c7751, v124
	v_add_f32_e32 v100, v116, v176
	v_mul_f32_e32 v186, 0x3eb8f4ab, v128
	v_mul_f32_e32 v201, 0xbf65296c, v128
	v_mul_f32_e32 v132, 0xbf06c442, v128
	s_waitcnt vmcnt(1)
	v_add_f32_e32 v4, v4, v5
	v_fma_f32 v5, 0xbf1a4643, v219, -v196
	v_mul_f32_e32 v196, 0x3f2c7751, v180
	v_add_f32_e32 v4, v5, v4
	v_fma_f32 v5, 0xbf7ba420, v224, -v208
	v_add_f32_e32 v4, v5, v4
	v_fma_f32 v5, 0xbf59a7d5, v228, -v210
	v_mul_f32_e32 v210, 0x3f65296c, v180
	v_add_f32_e32 v4, v5, v4
	v_fma_f32 v5, 0xbe8c1d8e, v232, -v212
	v_add_f32_e32 v4, v5, v4
	v_fma_f32 v5, 0x3ee437d1, v236, -v215
	;; [unrolled: 2-line block ×3, first 2 shown]
	v_add_f32_e32 v4, v5, v4
	buffer_load_dword v5, off, s[20:23], 0 offset:572 ; 4-byte Folded Reload
	s_waitcnt vmcnt(1)
	v_add_f32_e32 v3, v177, v3
	v_sub_f32_e32 v177, v152, v165
	v_add_f32_e32 v3, v162, v3
	v_mul_f32_e32 v131, 0xbf06c442, v177
	v_mul_f32_e32 v162, 0x3f763a35, v173
	;; [unrolled: 1-line block ×4, first 2 shown]
	v_add_f32_e32 v3, v198, v3
	v_mul_f32_e32 v198, 0x3f2c7751, v126
	v_mul_f32_e32 v145, 0xbe3c28d5, v177
	v_add_f32_e32 v3, v209, v3
	v_mul_f32_e32 v209, 0xbf4c4adb, v180
	v_add_f32_e32 v3, v211, v3
	;; [unrolled: 2-line block ×3, first 2 shown]
	v_add_f32_e32 v3, v214, v3
	s_waitcnt vmcnt(0)
	v_add_f32_e32 v5, v244, v5
	v_add_f32_e32 v5, v159, v5
	v_mul_f32_e32 v159, 0x3e3c28d5, v126
	v_add_f32_e32 v5, v247, v5
	v_add_f32_e32 v0, v0, v5
	v_fma_f32 v5, 0x3f3d2fb0, v228, -v190
	v_add_f32_e32 v0, v248, v0
	v_add_f32_e32 v5, v5, v6
	v_fma_f32 v6, 0x3f6eb680, v232, -v249
	v_add_f32_e32 v0, v250, v0
	v_add_f32_e32 v5, v6, v5
	v_fma_f32 v6, 0x3dbcf732, v236, -v252
	v_add_f32_e32 v6, v6, v5
	v_add_f32_e32 v5, v251, v0
	v_fma_f32 v0, 0x3f3d2fb0, v218, -v107
	v_add_f32_e32 v6, v7, v6
	ds_write2_b64 v2, v[5:6], v[3:4] offset0:98 offset1:105
	s_clause 0x1
	buffer_load_dword v3, off, s[20:23], 0 offset:560
	buffer_load_dword v4, off, s[20:23], 0 offset:564
	s_waitcnt vmcnt(1)
	v_add_f32_e32 v3, v220, v3
	s_waitcnt vmcnt(0)
	v_add_f32_e32 v0, v0, v4
	v_fma_f32 v4, 0x3ee437d1, v219, -v106
	v_mul_f32_e32 v106, 0xbf65296c, v126
	v_add_f32_e32 v3, v221, v3
	v_add_f32_e32 v0, v4, v0
	v_fma_f32 v4, 0x3dbcf732, v224, -v105
	v_add_f32_e32 v3, v226, v3
	v_add_f32_e32 v0, v4, v0
	v_fma_f32 v4, 0xbe8c1d8e, v228, -v104
	v_add_f32_e32 v3, v230, v3
	v_add_f32_e32 v104, v120, v174
	;; [unrolled: 1-line block ×3, first 2 shown]
	v_fma_f32 v4, 0xbf1a4643, v232, -v235
	v_add_f32_e32 v3, v234, v3
	v_add_f32_e32 v0, v4, v0
	v_fma_f32 v4, 0xbf59a7d5, v236, -v239
	v_add_f32_e32 v3, v238, v3
	v_add_f32_e32 v0, v4, v0
	;; [unrolled: 3-line block ×3, first 2 shown]
	s_clause 0x4
	buffer_load_dword v7, off, s[20:23], 0 offset:416
	buffer_load_dword v0, off, s[20:23], 0 offset:552
	;; [unrolled: 1-line block ×5, first 2 shown]
	ds_write_b64 v2, v[3:4] offset:896
	buffer_load_dword v4, off, s[20:23], 0 offset:540 ; 4-byte Folded Reload
	s_waitcnt vmcnt(5)
	v_add_f32_e32 v101, v7, v117
	s_waitcnt vmcnt(4)
	v_add_f32_e32 v0, v0, v7
	;; [unrolled: 2-line block ×3, first 2 shown]
	v_sub_f32_e32 v113, v7, v117
	buffer_load_dword v7, off, s[20:23], 0 offset:544 ; 4-byte Folded Reload
	v_add_f32_e32 v116, v122, v169
	s_waitcnt vmcnt(3)
	v_add_f32_e32 v0, v0, v8
	v_add_f32_e32 v5, v5, v120
	v_mul_f32_e32 v103, 0xbf2c7751, v113
	v_add_f32_e32 v120, v123, v167
	v_mul_f32_e32 v182, 0xbe3c28d5, v113
	v_add_f32_e32 v0, v0, v119
	v_add_f32_e32 v5, v5, v121
	v_add_f32_e32 v119, v151, v168
	v_mul_f32_e32 v9, 0x3f763a35, v113
	v_mul_f32_e32 v212, 0x3f65296c, v113
	v_add_f32_e32 v0, v0, v122
	v_add_f32_e32 v5, v5, v150
	;; [unrolled: 1-line block ×7, first 2 shown]
	v_mul_f32_e32 v152, 0x3f65296c, v178
	v_mul_f32_e32 v154, 0x3f65296c, v177
	v_add_f32_e32 v0, v0, v153
	v_add_f32_e32 v5, v5, v155
	v_mul_f32_e32 v153, 0x3eb8f4ab, v179
	v_mul_f32_e32 v155, 0xbf4c4adb, v124
	v_add_f32_e32 v0, v0, v156
	v_add_f32_e32 v5, v5, v157
	;; [unrolled: 4-line block ×3, first 2 shown]
	v_add_f32_e32 v0, v0, v167
	v_add_f32_e32 v5, v5, v168
	;; [unrolled: 1-line block ×6, first 2 shown]
	v_sub_f32_e32 v172, v122, v169
	v_mul_f32_e32 v122, 0xbf4c4adb, v175
	v_mul_f32_e32 v169, 0xbf7ee86f, v178
	v_add_f32_e32 v0, v0, v118
	v_add_f32_e32 v5, v5, v174
	v_sub_f32_e32 v174, v150, v170
	v_mul_f32_e32 v149, 0x3f06c442, v172
	v_mul_f32_e32 v166, 0x3f2c7751, v172
	v_add_f32_e32 v0, v0, v117
	v_add_f32_e32 v6, v5, v176
	v_mul_f32_e32 v117, 0xbf763a35, v174
	v_sub_f32_e32 v176, v151, v168
	v_mul_f32_e32 v147, 0x3f06c442, v174
	v_add_f32_e32 v5, v0, v114
	v_add_f32_e32 v6, v6, v1
	buffer_load_dword v1, off, s[20:23], 0 offset:548 ; 4-byte Folded Reload
	v_fma_f32 v0, 0x3f3d2fb0, v101, -v102
	v_add_f32_e32 v114, v150, v170
	v_mul_f32_e32 v121, 0xbf4c4adb, v176
	v_mul_f32_e32 v150, 0x3f763a35, v176
	;; [unrolled: 1-line block ×17, first 2 shown]
	v_fmac_f32_e32 v102, 0x3f3d2fb0, v101
	s_waitcnt vmcnt(0)
	v_add_f32_e32 v0, v0, v1
	v_fmamk_f32 v1, v100, 0x3f3d2fb0, v103
	v_add_f32_e32 v1, v1, v7
	v_mov_b32_e32 v7, v8
	buffer_load_dword v8, off, s[20:23], 0 offset:528 ; 4-byte Folded Reload
	v_add_f32_e32 v105, v7, v118
	v_sub_f32_e32 v125, v7, v118
	v_mul_f32_e32 v118, 0xbf763a35, v172
	v_fma_f32 v7, 0x3ee437d1, v105, -v106
	v_mul_f32_e32 v107, 0xbf65296c, v125
	v_mul_f32_e32 v141, 0xbf4c4adb, v125
	;; [unrolled: 1-line block ×4, first 2 shown]
	v_add_f32_e32 v0, v7, v0
	v_fmamk_f32 v7, v104, 0x3ee437d1, v107
	v_mul_f32_e32 v199, 0x3f2c7751, v125
	v_mul_f32_e32 v11, 0xbeb8f4ab, v125
	v_fmac_f32_e32 v106, 0x3ee437d1, v105
	v_add_f32_e32 v1, v7, v1
	v_fma_f32 v7, 0x3dbcf732, v109, -v110
	v_fmac_f32_e32 v110, 0x3dbcf732, v109
	v_add_f32_e32 v0, v7, v0
	v_fmamk_f32 v7, v108, 0x3dbcf732, v111
	v_add_f32_e32 v1, v7, v1
	v_fma_f32 v7, 0xbe8c1d8e, v116, -v117
	v_fmac_f32_e32 v117, 0xbe8c1d8e, v116
	v_add_f32_e32 v0, v7, v0
	v_fmamk_f32 v7, v114, 0xbe8c1d8e, v118
	;; [unrolled: 5-line block ×5, first 2 shown]
	buffer_load_dword v7, off, s[20:23], 0 offset:532 ; 4-byte Folded Reload
	v_add_f32_e32 v144, v0, v1
	buffer_load_dword v0, off, s[20:23], 0 offset:400 ; 4-byte Folded Reload
	v_mul_f32_e32 v1, 0xbf7ee86f, v124
	v_fma_f32 v3, 0x3dbcf732, v101, -v1
	v_fmac_f32_e32 v1, 0x3dbcf732, v101
	v_add_f32_e32 v4, v3, v4
	v_mul_f32_e32 v3, 0xbf7ee86f, v113
	s_waitcnt vmcnt(0)
	v_mul_u32_u24_sdwa v0, v0, v197 dst_sel:DWORD dst_unused:UNUSED_PAD src0_sel:WORD_0 src1_sel:DWORD
	v_mul_f32_e32 v197, 0x3f06c442, v113
	v_add_nc_u32_sdwa v0, v0, v115 dst_sel:DWORD dst_unused:UNUSED_PAD src0_sel:DWORD src1_sel:BYTE_0
	v_mul_f32_e32 v115, 0xbf4c4adb, v126
	v_lshl_add_u32 v0, v0, 3, v12
	ds_write2_b64 v0, v[5:6], v[143:144] offset1:7
	buffer_load_dword v6, off, s[20:23], 0 offset:536 ; 4-byte Folded Reload
	v_fmamk_f32 v5, v100, 0x3dbcf732, v3
	v_mul_f32_e32 v143, 0xbe3c28d5, v173
	v_mul_f32_e32 v144, 0xbe3c28d5, v128
	v_fma_f32 v3, 0x3dbcf732, v100, -v3
	s_waitcnt vmcnt(0)
	v_add_f32_e32 v5, v5, v6
	v_fma_f32 v6, 0xbf1a4643, v105, -v115
	v_fmac_f32_e32 v115, 0xbf1a4643, v105
	v_add_f32_e32 v4, v6, v4
	v_fmamk_f32 v6, v104, 0xbf1a4643, v141
	v_add_f32_e32 v5, v6, v5
	v_fma_f32 v6, 0xbf7ba420, v109, -v143
	v_fmac_f32_e32 v143, 0xbf7ba420, v109
	v_add_f32_e32 v4, v6, v4
	v_fmamk_f32 v6, v108, 0xbf7ba420, v144
	;; [unrolled: 5-line block ×13, first 2 shown]
	v_add_f32_e32 v7, v8, v7
	buffer_load_dword v8, off, s[20:23], 0 offset:512 ; 4-byte Folded Reload
	ds_write2_b64 v0, v[4:5], v[6:7] offset0:14 offset1:21
	s_clause 0x2
	buffer_load_dword v5, off, s[20:23], 0 offset:524
	buffer_load_dword v6, off, s[20:23], 0 offset:520
	;; [unrolled: 1-line block ×3, first 2 shown]
	v_fma_f32 v4, 0xbf7ba420, v101, -v181
	v_fmac_f32_e32 v181, 0xbf7ba420, v101
	s_waitcnt vmcnt(2)
	v_add_f32_e32 v4, v4, v5
	v_fmamk_f32 v5, v100, 0xbf7ba420, v182
	s_waitcnt vmcnt(1)
	v_add_f32_e32 v5, v5, v6
	v_fma_f32 v6, 0xbe8c1d8e, v105, -v183
	v_fmac_f32_e32 v183, 0xbe8c1d8e, v105
	v_add_f32_e32 v4, v6, v4
	v_fmamk_f32 v6, v104, 0xbe8c1d8e, v184
	v_add_f32_e32 v5, v6, v5
	v_fma_f32 v6, 0x3f6eb680, v109, -v185
	v_fmac_f32_e32 v185, 0x3f6eb680, v109
	v_add_f32_e32 v4, v6, v4
	v_fmamk_f32 v6, v108, 0x3f6eb680, v186
	;; [unrolled: 5-line block ×6, first 2 shown]
	v_add_f32_e32 v5, v6, v5
	v_fma_f32 v6, 0xbf59a7d5, v101, -v195
	v_fmac_f32_e32 v195, 0xbf59a7d5, v101
	s_waitcnt vmcnt(0)
	v_add_f32_e32 v6, v6, v7
	v_fmamk_f32 v7, v100, 0xbf59a7d5, v197
	v_add_f32_e32 v7, v7, v8
	v_fma_f32 v8, 0x3f3d2fb0, v105, -v198
	v_fmac_f32_e32 v198, 0x3f3d2fb0, v105
	v_add_f32_e32 v6, v8, v6
	v_fmamk_f32 v8, v104, 0x3f3d2fb0, v199
	v_add_f32_e32 v7, v8, v7
	v_fma_f32 v8, 0x3ee437d1, v109, -v200
	v_fmac_f32_e32 v200, 0x3ee437d1, v109
	;; [unrolled: 5-line block ×6, first 2 shown]
	v_add_f32_e32 v6, v8, v6
	v_fmamk_f32 v8, v133, 0xbf1a4643, v209
	v_add_f32_e32 v7, v8, v7
	v_mul_f32_e32 v8, 0x3f763a35, v124
	ds_write2_b64 v0, v[4:5], v[6:7] offset0:28 offset1:35
	s_clause 0x2
	buffer_load_dword v5, off, s[20:23], 0 offset:508
	buffer_load_dword v6, off, s[20:23], 0 offset:504
	;; [unrolled: 1-line block ×3, first 2 shown]
	v_fma_f32 v4, 0xbe8c1d8e, v101, -v8
	v_fmac_f32_e32 v8, 0xbe8c1d8e, v101
	s_waitcnt vmcnt(2)
	v_add_f32_e32 v4, v4, v5
	v_fmamk_f32 v5, v100, 0xbe8c1d8e, v9
	s_waitcnt vmcnt(1)
	v_add_f32_e32 v5, v5, v6
	v_fma_f32 v6, 0x3f6eb680, v105, -v10
	v_fmac_f32_e32 v10, 0x3f6eb680, v105
	v_add_f32_e32 v4, v6, v4
	v_fmamk_f32 v6, v104, 0x3f6eb680, v11
	v_add_f32_e32 v5, v6, v5
	v_fma_f32 v6, 0xbf59a7d5, v109, -v130
	v_fmac_f32_e32 v130, 0xbf59a7d5, v109
	v_add_f32_e32 v4, v6, v4
	v_fmamk_f32 v6, v108, 0xbf59a7d5, v132
	;; [unrolled: 5-line block ×6, first 2 shown]
	v_add_f32_e32 v5, v6, v5
	v_fma_f32 v6, 0x3ee437d1, v101, -v211
	v_fmac_f32_e32 v211, 0x3ee437d1, v101
	s_waitcnt vmcnt(0)
	v_add_f32_e32 v6, v6, v7
	v_fmamk_f32 v7, v100, 0x3ee437d1, v212
	v_add_f32_e32 v7, v7, v213
	v_mul_f32_e32 v213, 0xbf7ee86f, v126
	v_fma_f32 v214, 0x3dbcf732, v105, -v213
	v_fmac_f32_e32 v213, 0x3dbcf732, v105
	v_add_f32_e32 v6, v214, v6
	v_mul_f32_e32 v214, 0xbf7ee86f, v125
	v_fmamk_f32 v215, v104, 0x3dbcf732, v214
	v_add_f32_e32 v7, v215, v7
	v_mul_f32_e32 v215, 0x3f4c4adb, v173
	v_fma_f32 v216, 0xbf1a4643, v109, -v215
	v_fmac_f32_e32 v215, 0xbf1a4643, v109
	v_add_f32_e32 v6, v216, v6
	v_mul_f32_e32 v216, 0x3f4c4adb, v128
	;; [unrolled: 7-line block ×3, first 2 shown]
	v_mul_f32_e32 v172, 0xbf4c4adb, v172
	v_fmamk_f32 v219, v114, 0x3f6eb680, v218
	v_add_f32_e32 v7, v219, v7
	v_mul_f32_e32 v219, 0xbe3c28d5, v176
	v_fma_f32 v220, 0xbf7ba420, v120, -v219
	v_fmac_f32_e32 v219, 0xbf7ba420, v120
	v_add_f32_e32 v6, v220, v6
	v_mul_f32_e32 v220, 0xbe3c28d5, v175
	v_fmamk_f32 v221, v119, 0xbf7ba420, v220
	v_add_f32_e32 v7, v221, v7
	v_mul_f32_e32 v221, 0x3f2c7751, v178
	v_fma_f32 v222, 0x3f3d2fb0, v127, -v221
	v_fmac_f32_e32 v221, 0x3f3d2fb0, v127
	v_add_f32_e32 v6, v222, v6
	;; [unrolled: 7-line block ×3, first 2 shown]
	v_mul_f32_e32 v224, 0xbf763a35, v180
	v_fmamk_f32 v225, v133, 0xbe8c1d8e, v224
	v_add_f32_e32 v7, v225, v7
	ds_write2_b64 v0, v[4:5], v[6:7] offset0:42 offset1:49
	buffer_load_dword v5, off, s[20:23], 0 offset:488 ; 4-byte Folded Reload
	v_mul_f32_e32 v7, 0x3eb8f4ab, v113
	buffer_load_dword v113, off, s[20:23], 0 offset:484 ; 4-byte Folded Reload
	v_mul_f32_e32 v6, 0x3eb8f4ab, v124
	v_fma_f32 v4, 0x3f6eb680, v101, -v6
	v_fmac_f32_e32 v6, 0x3f6eb680, v101
	s_waitcnt vmcnt(1)
	v_add_f32_e32 v4, v4, v5
	v_fmamk_f32 v5, v100, 0x3f6eb680, v7
	v_fma_f32 v7, 0x3f6eb680, v100, -v7
	s_waitcnt vmcnt(0)
	v_add_f32_e32 v5, v5, v113
	v_mul_f32_e32 v113, 0xbf06c442, v126
	v_fma_f32 v124, 0xbf59a7d5, v105, -v113
	v_fmac_f32_e32 v113, 0xbf59a7d5, v105
	v_add_f32_e32 v4, v124, v4
	v_mul_f32_e32 v124, 0xbf06c442, v125
	v_fmamk_f32 v125, v104, 0xbf59a7d5, v124
	v_add_f32_e32 v5, v125, v5
	v_mul_f32_e32 v125, 0x3f2c7751, v173
	v_fma_f32 v126, 0x3f3d2fb0, v109, -v125
	v_fmac_f32_e32 v125, 0x3f3d2fb0, v109
	v_add_f32_e32 v4, v126, v4
	v_mul_f32_e32 v126, 0x3f2c7751, v128
	v_fmamk_f32 v128, v108, 0x3f3d2fb0, v126
	v_add_f32_e32 v5, v128, v5
	v_mul_f32_e32 v128, 0xbf4c4adb, v174
	v_fma_f32 v173, 0xbf1a4643, v116, -v128
	v_fmac_f32_e32 v128, 0xbf1a4643, v116
	v_add_f32_e32 v4, v173, v4
	v_fmamk_f32 v173, v114, 0xbf1a4643, v172
	v_add_f32_e32 v5, v173, v5
	v_mul_f32_e32 v173, 0x3f65296c, v176
	v_fma_f32 v174, 0x3ee437d1, v120, -v173
	v_fmac_f32_e32 v173, 0x3ee437d1, v120
	v_add_f32_e32 v4, v174, v4
	v_mul_f32_e32 v174, 0x3f65296c, v175
	v_fmamk_f32 v175, v119, 0x3ee437d1, v174
	v_add_f32_e32 v5, v175, v5
	v_mul_f32_e32 v175, 0xbf763a35, v178
	v_mul_f32_e32 v178, 0x3f7ee86f, v180
	buffer_load_dword v180, off, s[20:23], 0 offset:396 ; 4-byte Folded Reload
	v_fma_f32 v176, 0xbe8c1d8e, v127, -v175
	v_fmac_f32_e32 v175, 0xbe8c1d8e, v127
	v_add_f32_e32 v4, v176, v4
	v_mul_f32_e32 v176, 0xbf763a35, v177
	v_fmamk_f32 v177, v123, 0xbe8c1d8e, v176
	v_add_f32_e32 v5, v177, v5
	v_mul_f32_e32 v177, 0x3f7ee86f, v179
	v_fma_f32 v179, 0x3dbcf732, v135, -v177
	v_fmac_f32_e32 v177, 0x3dbcf732, v135
	v_add_f32_e32 v4, v179, v4
	v_fmamk_f32 v179, v133, 0x3dbcf732, v178
	v_add_f32_e32 v5, v179, v5
	buffer_load_dword v179, off, s[20:23], 0 offset:480 ; 4-byte Folded Reload
	s_waitcnt vmcnt(0)
	v_add_f32_e32 v6, v6, v179
	buffer_load_dword v179, off, s[20:23], 0 offset:492 ; 4-byte Folded Reload
	v_add_f32_e32 v6, v113, v6
	v_fma_f32 v113, 0xbf59a7d5, v104, -v124
	v_add_f32_e32 v6, v125, v6
	v_add_f32_e32 v125, v14, v22
	v_add_f32_e32 v6, v128, v6
	v_add_f32_e32 v6, v173, v6
	v_sub_f32_e32 v173, v25, v146
	v_add_f32_e32 v6, v175, v6
	buffer_load_dword v175, off, s[20:23], 0 offset:384 ; 4-byte Folded Reload
	v_add_f32_e32 v6, v177, v6
	s_waitcnt vmcnt(1)
	v_add_f32_e32 v7, v7, v179
	v_add_f32_e32 v7, v113, v7
	v_fma_f32 v113, 0x3f3d2fb0, v108, -v126
	v_add_f32_e32 v7, v113, v7
	v_fma_f32 v113, 0xbf1a4643, v114, -v172
	v_sub_f32_e32 v172, v23, v148
	v_add_f32_e32 v7, v113, v7
	v_fma_f32 v113, 0x3ee437d1, v119, -v174
	v_sub_f32_e32 v174, v27, v15
	v_add_f32_e32 v7, v113, v7
	v_fma_f32 v113, 0xbe8c1d8e, v123, -v176
	v_mov_b32_e32 v176, v13
	v_mul_f32_e32 v116, 0xbf06c442, v174
	v_add_f32_e32 v7, v113, v7
	v_fma_f32 v113, 0x3dbcf732, v133, -v178
	buffer_load_dword v178, off, s[20:23], 0 offset:388 ; 4-byte Folded Reload
	v_add_f32_e32 v7, v113, v7
	ds_write2_b64 v0, v[4:5], v[6:7] offset0:56 offset1:63
	s_clause 0x1
	buffer_load_dword v6, off, s[20:23], 0 offset:472
	buffer_load_dword v4, off, s[20:23], 0 offset:476
	v_fma_f32 v5, 0xbe8c1d8e, v100, -v9
	v_fma_f32 v7, 0x3ee437d1, v100, -v212
	s_waitcnt vmcnt(1)
	v_add_f32_e32 v5, v5, v6
	v_fma_f32 v6, 0x3f6eb680, v104, -v11
	v_add_f32_e32 v5, v6, v5
	v_fma_f32 v6, 0xbf59a7d5, v108, -v132
	;; [unrolled: 2-line block ×6, first 2 shown]
	v_add_f32_e32 v5, v6, v5
	buffer_load_dword v6, off, s[20:23], 0 offset:468 ; 4-byte Folded Reload
	s_waitcnt vmcnt(1)
	v_add_f32_e32 v4, v8, v4
	buffer_load_dword v8, off, s[20:23], 0 offset:464 ; 4-byte Folded Reload
	v_add_f32_e32 v4, v10, v4
	v_add_f32_e32 v4, v130, v4
	v_mul_f32_e32 v130, 0xbeb8f4ab, v173
	v_add_f32_e32 v4, v134, v4
	v_mul_f32_e32 v134, 0xbf4c4adb, v174
	v_add_f32_e32 v4, v138, v4
	v_add_f32_e32 v4, v142, v4
	;; [unrolled: 1-line block ×3, first 2 shown]
	s_waitcnt vmcnt(1)
	v_add_f32_e32 v6, v211, v6
	s_waitcnt vmcnt(0)
	v_add_f32_e32 v7, v7, v8
	v_fma_f32 v8, 0x3dbcf732, v104, -v214
	v_add_f32_e32 v6, v213, v6
	v_add_f32_e32 v7, v8, v7
	v_fma_f32 v8, 0xbf1a4643, v108, -v216
	v_add_f32_e32 v6, v215, v6
	;; [unrolled: 3-line block ×6, first 2 shown]
	v_add_f32_e32 v7, v8, v7
	ds_write2_b64 v0, v[6:7], v[4:5] offset0:70 offset1:77
	s_clause 0x1
	buffer_load_dword v4, off, s[20:23], 0 offset:460
	buffer_load_dword v177, off, s[20:23], 0 offset:392
	v_fma_f32 v5, 0xbf7ba420, v100, -v182
	v_fma_f32 v7, 0xbf59a7d5, v100, -v197
	s_waitcnt vmcnt(1)
	v_add_f32_e32 v4, v181, v4
	s_clause 0x3
	buffer_load_dword v181, off, s[20:23], 0 offset:372
	buffer_load_dword v182, off, s[20:23], 0 offset:380
	;; [unrolled: 1-line block ×4, first 2 shown]
	s_waitcnt vmcnt(4)
	v_add_f32_e32 v128, v13, v177
	v_add_f32_e32 v4, v183, v4
	buffer_load_dword v183, off, s[20:23], 0 offset:376 ; 4-byte Folded Reload
	v_add_f32_e32 v4, v185, v4
	v_add_f32_e32 v4, v187, v4
	;; [unrolled: 1-line block ×5, first 2 shown]
	s_waitcnt vmcnt(2)
	v_add_f32_e32 v5, v5, v6
	v_fma_f32 v6, 0xbe8c1d8e, v104, -v184
	s_waitcnt vmcnt(1)
	v_add_f32_e32 v7, v7, v8
	v_fma_f32 v8, 0x3f3d2fb0, v104, -v199
	v_add_f32_e32 v5, v6, v5
	v_fma_f32 v6, 0x3f6eb680, v108, -v186
	v_add_f32_e32 v7, v8, v7
	v_fma_f32 v8, 0x3ee437d1, v108, -v201
	v_add_f32_e32 v5, v6, v5
	v_fma_f32 v6, 0x3ee437d1, v114, -v188
	v_add_f32_e32 v7, v8, v7
	v_fma_f32 v8, 0xbf7ba420, v114, -v203
	v_add_f32_e32 v5, v6, v5
	v_fma_f32 v6, 0xbf59a7d5, v119, -v191
	v_add_f32_e32 v7, v8, v7
	v_fma_f32 v8, 0x3dbcf732, v119, -v205
	v_add_f32_e32 v5, v6, v5
	v_fma_f32 v6, 0xbf1a4643, v123, -v194
	v_add_f32_e32 v7, v8, v7
	v_fma_f32 v8, 0x3f6eb680, v123, -v208
	v_add_f32_e32 v5, v6, v5
	v_fma_f32 v6, 0x3f3d2fb0, v133, -v196
	v_add_f32_e32 v7, v8, v7
	v_fma_f32 v8, 0xbf1a4643, v133, -v209
	v_add_f32_e32 v5, v6, v5
	buffer_load_dword v6, off, s[20:23], 0 offset:452 ; 4-byte Folded Reload
	v_add_f32_e32 v7, v8, v7
	s_waitcnt vmcnt(0)
	v_add_f32_e32 v6, v195, v6
	v_add_f32_e32 v6, v198, v6
	;; [unrolled: 1-line block ×7, first 2 shown]
	ds_write2_b64 v0, v[6:7], v[4:5] offset0:84 offset1:91
	buffer_load_dword v4, off, s[20:23], 0 offset:444 ; 4-byte Folded Reload
	v_fma_f32 v5, 0x3f6eb680, v133, -v156
	v_fma_f32 v7, 0xbf59a7d5, v133, -v112
	v_mul_f32_e32 v156, 0xbf763a35, v174
	buffer_load_dword v6, off, s[20:23], 0 offset:432 ; 4-byte Folded Reload
	s_waitcnt vmcnt(1)
	v_add_f32_e32 v1, v1, v4
	buffer_load_dword v4, off, s[20:23], 0 offset:440 ; 4-byte Folded Reload
	v_add_f32_e32 v1, v115, v1
	v_add_f32_e32 v1, v143, v1
	;; [unrolled: 1-line block ×3, first 2 shown]
	v_sub_f32_e32 v147, v13, v177
	v_add_f32_e32 v1, v150, v1
	v_mul_f32_e32 v9, 0xbf2c7751, v147
	v_add_f32_e32 v1, v152, v1
	v_fmamk_f32 v10, v125, 0x3f3d2fb0, v9
	s_waitcnt vmcnt(0)
	v_add_f32_e32 v3, v3, v4
	v_fma_f32 v4, 0xbf1a4643, v104, -v141
	v_add_f32_e32 v141, v23, v148
	v_add_f32_e32 v3, v4, v3
	v_fma_f32 v4, 0xbf7ba420, v108, -v144
	v_add_f32_e32 v3, v4, v3
	v_fma_f32 v4, 0xbf59a7d5, v114, -v149
	v_add_f32_e32 v149, v25, v146
	v_add_f32_e32 v3, v4, v3
	v_fma_f32 v4, 0xbe8c1d8e, v119, -v151
	v_add_f32_e32 v3, v4, v3
	v_fma_f32 v4, 0x3ee437d1, v123, -v154
	v_add_f32_e32 v4, v4, v3
	v_add_f32_e32 v3, v153, v1
	buffer_load_dword v1, off, s[20:23], 0 offset:436 ; 4-byte Folded Reload
	v_add_f32_e32 v4, v5, v4
	v_fma_f32 v5, 0xbf1a4643, v100, -v157
	v_add_f32_e32 v5, v5, v6
	v_fma_f32 v6, 0xbf7ba420, v104, -v160
	;; [unrolled: 2-line block ×6, first 2 shown]
	v_add_f32_e32 v6, v6, v5
	v_add_f32_e32 v6, v7, v6
	s_waitcnt vmcnt(0)
	v_add_f32_e32 v1, v155, v1
	v_add_f32_e32 v155, v27, v15
	;; [unrolled: 1-line block ×5, first 2 shown]
	v_sub_f32_e32 v162, v14, v22
	v_add_f32_e32 v1, v165, v1
	v_add_f32_e32 v165, v26, v175
	;; [unrolled: 1-line block ×4, first 2 shown]
	v_sub_f32_e32 v169, v24, v178
	v_add_f32_e32 v5, v170, v1
	v_sub_f32_e32 v170, v26, v175
	v_mul_f32_e32 v115, 0xbf7ee86f, v169
	v_mul_f32_e32 v132, 0xbeb8f4ab, v169
	ds_write2_b64 v0, v[5:6], v[3:4] offset0:98 offset1:105
	s_clause 0x3
	buffer_load_dword v3, off, s[20:23], 0 offset:8
	buffer_load_dword v4, off, s[20:23], 0 offset:12
	;; [unrolled: 1-line block ×4, first 2 shown]
	v_mul_f32_e32 v109, 0xbe3c28d5, v170
	v_mul_f32_e32 v136, 0xbf4c4adb, v170
	;; [unrolled: 1-line block ×3, first 2 shown]
	v_fmamk_f32 v151, v155, 0xbe8c1d8e, v157
	s_waitcnt vmcnt(2)
	v_mul_f32_e32 v1, v4, v31
	s_waitcnt vmcnt(1)
	v_add_f32_e32 v5, v102, v5
	v_fma_f32 v1, v3, v30, -v1
	v_mul_f32_e32 v3, v3, v31
	v_add_f32_e32 v5, v106, v5
	v_mul_f32_e32 v106, 0xbf06c442, v173
	v_fmac_f32_e32 v3, v4, v30
	v_fma_f32 v4, 0x3f3d2fb0, v100, -v103
	v_add_f32_e32 v5, v110, v5
	s_waitcnt vmcnt(0)
	v_add_f32_e32 v4, v4, v6
	v_fma_f32 v6, 0x3ee437d1, v104, -v107
	v_add_f32_e32 v5, v117, v5
	v_mul_f32_e32 v104, 0xbf4c4adb, v172
	v_mul_f32_e32 v107, 0xbf06c442, v169
	;; [unrolled: 1-line block ×3, first 2 shown]
	v_add_f32_e32 v4, v6, v4
	v_fma_f32 v6, 0x3dbcf732, v108, -v111
	v_add_f32_e32 v5, v121, v5
	v_mul_f32_e32 v108, 0xbe3c28d5, v174
	v_add_f32_e32 v4, v6, v4
	v_fma_f32 v6, 0xbe8c1d8e, v114, -v118
	v_add_f32_e32 v5, v129, v5
	v_mul_f32_e32 v129, v98, v17
	v_mul_f32_e32 v114, 0xbf7ee86f, v173
	v_add_f32_e32 v4, v6, v4
	v_fma_f32 v6, 0xbf1a4643, v119, -v122
	v_fmac_f32_e32 v129, v99, v16
	v_add_f32_e32 v122, v137, v5
	v_add_f32_e32 v4, v6, v4
	v_fma_f32 v6, 0xbf59a7d5, v123, -v131
	v_sub_f32_e32 v152, v129, v3
	v_add_f32_e32 v124, v129, v3
	v_add_f32_e32 v4, v6, v4
	v_fma_f32 v6, 0xbf7ba420, v133, -v139
	v_add_f32_e32 v123, v6, v4
	v_mul_f32_e32 v4, v99, v17
	buffer_store_dword v16, off, s[20:23], 0 offset:400 ; 4-byte Folded Spill
	buffer_store_dword v17, off, s[20:23], 0 offset:404 ; 4-byte Folded Spill
	;; [unrolled: 1-line block ×4, first 2 shown]
	v_mov_b32_e32 v19, v21
	s_clause 0x1
	buffer_load_dword v18, off, s[20:23], 0 offset:368
	buffer_load_dword v17, off, s[20:23], 0 offset:364
	v_mul_f32_e32 v6, 0xbf2c7751, v162
	v_sub_f32_e32 v171, v19, v158
	v_add_f32_e32 v137, v19, v158
	v_fma_f32 v7, 0x3f3d2fb0, v128, -v6
	v_fmac_f32_e32 v6, 0x3f3d2fb0, v128
	v_mul_f32_e32 v102, 0xbf763a35, v171
	v_fma_f32 v127, v98, v16, -v4
	s_clause 0x3
	buffer_load_dword v16, off, s[20:23], 0 offset:360
	buffer_load_dword v21, off, s[20:23], 0 offset:352
	;; [unrolled: 1-line block ×4, first 2 shown]
	v_mul_f32_e32 v4, 0xbeb8f4ab, v152
	v_add_f32_e32 v126, v127, v1
	v_sub_f32_e32 v144, v127, v1
	s_waitcnt vmcnt(4)
	v_sub_f32_e32 v168, v17, v164
	v_add_f32_e32 v133, v17, v164
	v_add_f32_e32 v143, v18, v181
	v_fma_f32 v5, 0x3f6eb680, v126, -v4
	v_sub_f32_e32 v163, v18, v181
	v_mul_f32_e32 v100, 0xbf7ee86f, v168
	v_fmac_f32_e32 v4, 0x3f6eb680, v126
	ds_write_b64 v0, v[122:123] offset:896
	v_add_f32_e32 v5, v96, v5
	v_mul_f32_e32 v103, 0xbf763a35, v163
	v_add_f32_e32 v4, v96, v4
	v_add_f32_e32 v5, v7, v5
	v_mul_f32_e32 v7, 0xbeb8f4ab, v144
	v_add_f32_e32 v4, v6, v4
	v_fma_f32 v6, 0x3f3d2fb0, v125, -v9
	v_fmamk_f32 v8, v124, 0x3f6eb680, v7
	v_add_f32_e32 v8, v97, v8
	v_add_f32_e32 v8, v10, v8
	s_waitcnt vmcnt(3)
	v_add_f32_e32 v139, v16, v183
	s_waitcnt vmcnt(2)
	v_sub_f32_e32 v166, v21, v161
	s_waitcnt vmcnt(1)
	v_add_f32_e32 v135, v98, v182
	v_sub_f32_e32 v153, v98, v182
	v_add_f32_e32 v131, v21, v161
	v_mov_b32_e32 v13, v98
	v_mul_f32_e32 v10, 0xbf65296c, v166
	v_sub_f32_e32 v160, v16, v183
	s_waitcnt vmcnt(0)
	v_add_f32_e32 v154, v99, v180
	v_sub_f32_e32 v167, v99, v180
	v_mov_b32_e32 v179, v99
	v_fma_f32 v11, 0x3ee437d1, v135, -v10
	v_mul_f32_e32 v101, 0xbf7ee86f, v160
	v_fmac_f32_e32 v10, 0x3ee437d1, v135
	v_mul_f32_e32 v105, 0xbf4c4adb, v167
	v_fmamk_f32 v99, v155, 0xbf7ba420, v109
	v_add_f32_e32 v5, v11, v5
	v_mul_f32_e32 v11, 0xbf65296c, v153
	v_add_f32_e32 v4, v10, v4
	v_mul_f32_e32 v113, 0xbeb8f4ab, v167
	v_mul_f32_e32 v121, 0x3f7ee86f, v167
	v_fmamk_f32 v98, v131, 0x3ee437d1, v11
	v_add_f32_e32 v8, v98, v8
	v_fma_f32 v98, 0x3dbcf732, v139, -v100
	v_fmac_f32_e32 v100, 0x3dbcf732, v139
	v_add_f32_e32 v5, v98, v5
	v_fmamk_f32 v98, v133, 0x3dbcf732, v101
	v_add_f32_e32 v4, v100, v4
	v_add_f32_e32 v8, v98, v8
	v_fma_f32 v98, 0xbe8c1d8e, v143, -v102
	v_fmac_f32_e32 v102, 0xbe8c1d8e, v143
	v_add_f32_e32 v5, v98, v5
	v_fmamk_f32 v98, v137, 0xbe8c1d8e, v103
	v_add_f32_e32 v4, v102, v4
	v_mul_f32_e32 v102, 0x3eb8f4ab, v174
	v_add_f32_e32 v8, v98, v8
	v_fma_f32 v98, 0xbf1a4643, v154, -v104
	v_fmac_f32_e32 v104, 0xbf1a4643, v154
	v_add_f32_e32 v5, v98, v5
	v_fmamk_f32 v98, v141, 0xbf1a4643, v105
	v_add_f32_e32 v4, v104, v4
	v_add_f32_e32 v8, v98, v8
	v_fma_f32 v98, 0xbf59a7d5, v159, -v106
	v_fmac_f32_e32 v106, 0xbf59a7d5, v159
	v_add_f32_e32 v5, v98, v5
	v_fmamk_f32 v98, v149, 0xbf59a7d5, v107
	v_add_f32_e32 v4, v106, v4
	v_add_f32_e32 v8, v98, v8
	v_fma_f32 v98, 0xbf7ba420, v165, -v108
	v_fmac_f32_e32 v108, 0xbf7ba420, v165
	v_add_f32_e32 v99, v99, v8
	v_add_f32_e32 v98, v98, v5
	v_fma_f32 v5, 0x3f6eb680, v124, -v7
	v_add_f32_e32 v104, v108, v4
	v_mul_f32_e32 v4, 0xbf2c7751, v152
	v_add_f32_e32 v5, v97, v5
	v_add_f32_e32 v5, v6, v5
	v_fma_f32 v6, 0x3ee437d1, v131, -v11
	v_add_f32_e32 v5, v6, v5
	v_fma_f32 v6, 0x3dbcf732, v133, -v101
	;; [unrolled: 2-line block ×3, first 2 shown]
	v_mul_f32_e32 v103, 0xbf7ee86f, v147
	v_add_f32_e32 v5, v6, v5
	v_fma_f32 v6, 0xbf1a4643, v141, -v105
	v_fmamk_f32 v106, v125, 0x3dbcf732, v103
	v_add_f32_e32 v5, v6, v5
	v_fma_f32 v6, 0xbf59a7d5, v149, -v107
	v_add_f32_e32 v5, v6, v5
	v_fma_f32 v6, 0xbf7ba420, v155, -v109
	;; [unrolled: 2-line block ×3, first 2 shown]
	v_mul_f32_e32 v6, 0xbf7ee86f, v162
	v_fmac_f32_e32 v4, 0x3f3d2fb0, v126
	v_add_f32_e32 v5, v96, v5
	v_fma_f32 v7, 0x3dbcf732, v128, -v6
	v_add_f32_e32 v4, v96, v4
	v_fmac_f32_e32 v6, 0x3dbcf732, v128
	v_add_f32_e32 v5, v7, v5
	v_mul_f32_e32 v7, 0xbf4c4adb, v166
	v_add_f32_e32 v4, v6, v4
	v_mul_f32_e32 v6, 0xbf4c4adb, v162
	v_fma_f32 v8, 0xbf1a4643, v135, -v7
	v_fmac_f32_e32 v7, 0xbf1a4643, v135
	v_add_f32_e32 v5, v8, v5
	v_mul_f32_e32 v8, 0xbe3c28d5, v168
	v_add_f32_e32 v4, v7, v4
	v_fma_f32 v7, 0xbf1a4643, v128, -v6
	v_fmac_f32_e32 v6, 0xbf1a4643, v128
	v_fma_f32 v9, 0xbf7ba420, v139, -v8
	v_fmac_f32_e32 v8, 0xbf7ba420, v139
	v_add_f32_e32 v5, v9, v5
	v_mul_f32_e32 v9, 0x3f06c442, v171
	v_add_f32_e32 v4, v8, v4
	v_fma_f32 v10, 0xbf59a7d5, v143, -v9
	v_fmac_f32_e32 v9, 0xbf59a7d5, v143
	v_add_f32_e32 v5, v10, v5
	v_mul_f32_e32 v10, 0x3f763a35, v172
	v_add_f32_e32 v4, v9, v4
	v_mul_f32_e32 v9, 0xbf4c4adb, v147
	v_fma_f32 v11, 0xbe8c1d8e, v154, -v10
	v_fmac_f32_e32 v10, 0xbe8c1d8e, v154
	v_add_f32_e32 v5, v11, v5
	v_mul_f32_e32 v11, 0x3f65296c, v173
	v_add_f32_e32 v4, v10, v4
	v_fmamk_f32 v10, v125, 0xbf1a4643, v9
	v_fma_f32 v100, 0x3ee437d1, v159, -v11
	v_fmac_f32_e32 v11, 0x3ee437d1, v159
	v_add_f32_e32 v5, v100, v5
	v_fma_f32 v100, 0x3f6eb680, v165, -v102
	v_add_f32_e32 v4, v11, v4
	v_fmac_f32_e32 v102, 0x3f6eb680, v165
	v_add_f32_e32 v100, v100, v5
	v_mul_f32_e32 v5, 0xbf2c7751, v144
	v_add_f32_e32 v102, v102, v4
	v_fmamk_f32 v101, v124, 0x3f3d2fb0, v5
	v_fma_f32 v4, 0x3f3d2fb0, v124, -v5
	v_fma_f32 v5, 0x3dbcf732, v125, -v103
	v_add_f32_e32 v101, v97, v101
	v_add_f32_e32 v4, v97, v4
	;; [unrolled: 1-line block ×3, first 2 shown]
	v_mul_f32_e32 v106, 0xbf4c4adb, v153
	v_add_f32_e32 v4, v5, v4
	v_fmamk_f32 v107, v131, 0xbf1a4643, v106
	v_fma_f32 v5, 0xbf1a4643, v131, -v106
	v_add_f32_e32 v101, v107, v101
	v_mul_f32_e32 v107, 0xbe3c28d5, v160
	v_add_f32_e32 v4, v5, v4
	v_fmamk_f32 v108, v133, 0xbf7ba420, v107
	v_fma_f32 v5, 0xbf7ba420, v133, -v107
	v_fmamk_f32 v107, v155, 0xbf59a7d5, v117
	v_add_f32_e32 v101, v108, v101
	v_mul_f32_e32 v108, 0x3f06c442, v163
	v_add_f32_e32 v4, v5, v4
	v_fmamk_f32 v109, v137, 0xbf59a7d5, v108
	v_fma_f32 v5, 0xbf59a7d5, v137, -v108
	v_mul_f32_e32 v108, 0x3f763a35, v168
	v_add_f32_e32 v101, v109, v101
	v_mul_f32_e32 v109, 0x3f763a35, v167
	v_add_f32_e32 v4, v5, v4
	v_fmamk_f32 v110, v141, 0xbe8c1d8e, v109
	v_fma_f32 v5, 0xbe8c1d8e, v141, -v109
	v_mul_f32_e32 v109, 0x3f763a35, v160
	;; [unrolled: 6-line block ×3, first 2 shown]
	v_add_f32_e32 v101, v111, v101
	v_mul_f32_e32 v111, 0x3eb8f4ab, v170
	v_add_f32_e32 v4, v5, v4
	v_fma_f32 v5, 0x3f6eb680, v155, -v111
	v_fmamk_f32 v112, v155, 0x3f6eb680, v111
	v_mul_f32_e32 v111, 0x3f2c7751, v163
	v_add_f32_e32 v103, v5, v4
	v_mul_f32_e32 v4, 0xbf65296c, v152
	v_add_f32_e32 v101, v112, v101
	v_mul_f32_e32 v112, 0xbeb8f4ab, v172
	v_fma_f32 v5, 0x3ee437d1, v126, -v4
	v_fmac_f32_e32 v4, 0x3ee437d1, v126
	v_add_f32_e32 v5, v96, v5
	v_add_f32_e32 v4, v96, v4
	v_add_f32_e32 v5, v7, v5
	v_mul_f32_e32 v7, 0xbf65296c, v144
	v_add_f32_e32 v4, v6, v4
	v_fma_f32 v6, 0xbf1a4643, v125, -v9
	v_fmamk_f32 v8, v124, 0x3ee437d1, v7
	v_add_f32_e32 v8, v97, v8
	v_add_f32_e32 v8, v10, v8
	v_mul_f32_e32 v10, 0x3e3c28d5, v166
	v_fma_f32 v11, 0xbf7ba420, v135, -v10
	v_fmac_f32_e32 v10, 0xbf7ba420, v135
	v_add_f32_e32 v5, v11, v5
	v_mul_f32_e32 v11, 0x3e3c28d5, v153
	v_add_f32_e32 v4, v10, v4
	v_fmamk_f32 v106, v131, 0xbf7ba420, v11
	v_add_f32_e32 v8, v106, v8
	v_fma_f32 v106, 0xbe8c1d8e, v139, -v108
	v_fmac_f32_e32 v108, 0xbe8c1d8e, v139
	v_add_f32_e32 v5, v106, v5
	v_fmamk_f32 v106, v133, 0xbe8c1d8e, v109
	v_add_f32_e32 v4, v108, v4
	v_add_f32_e32 v8, v106, v8
	v_fma_f32 v106, 0x3f3d2fb0, v143, -v110
	v_fmac_f32_e32 v110, 0x3f3d2fb0, v143
	v_add_f32_e32 v5, v106, v5
	v_fmamk_f32 v106, v137, 0x3f3d2fb0, v111
	v_add_f32_e32 v4, v110, v4
	v_mul_f32_e32 v110, 0x3f2c7751, v174
	v_add_f32_e32 v8, v106, v8
	v_fma_f32 v106, 0x3f6eb680, v154, -v112
	v_fmac_f32_e32 v112, 0x3f6eb680, v154
	v_add_f32_e32 v5, v106, v5
	v_fmamk_f32 v106, v141, 0x3f6eb680, v113
	v_add_f32_e32 v4, v112, v4
	v_add_f32_e32 v8, v106, v8
	v_fma_f32 v106, 0x3dbcf732, v159, -v114
	v_fmac_f32_e32 v114, 0x3dbcf732, v159
	v_add_f32_e32 v5, v106, v5
	v_fmamk_f32 v106, v149, 0x3dbcf732, v115
	v_add_f32_e32 v4, v114, v4
	v_add_f32_e32 v8, v106, v8
	v_fma_f32 v106, 0xbf59a7d5, v165, -v116
	v_fmac_f32_e32 v116, 0xbf59a7d5, v165
	v_add_f32_e32 v107, v107, v8
	v_add_f32_e32 v106, v106, v5
	v_fma_f32 v5, 0x3ee437d1, v124, -v7
	v_add_f32_e32 v112, v116, v4
	v_mul_f32_e32 v4, 0xbf7ee86f, v152
	v_add_f32_e32 v5, v97, v5
	v_add_f32_e32 v5, v6, v5
	v_fma_f32 v6, 0xbf7ba420, v131, -v11
	v_add_f32_e32 v5, v6, v5
	v_fma_f32 v6, 0xbe8c1d8e, v133, -v109
	;; [unrolled: 2-line block ×3, first 2 shown]
	v_mul_f32_e32 v111, 0xbe3c28d5, v147
	v_add_f32_e32 v5, v6, v5
	v_fma_f32 v6, 0x3f6eb680, v141, -v113
	v_fmamk_f32 v114, v125, 0xbf7ba420, v111
	v_add_f32_e32 v5, v6, v5
	v_fma_f32 v6, 0x3dbcf732, v149, -v115
	v_add_f32_e32 v5, v6, v5
	v_fma_f32 v6, 0xbf59a7d5, v155, -v117
	;; [unrolled: 2-line block ×3, first 2 shown]
	v_mul_f32_e32 v6, 0xbe3c28d5, v162
	v_fmac_f32_e32 v4, 0x3dbcf732, v126
	v_add_f32_e32 v5, v96, v5
	v_fma_f32 v7, 0xbf7ba420, v128, -v6
	v_add_f32_e32 v4, v96, v4
	v_fmac_f32_e32 v6, 0xbf7ba420, v128
	v_add_f32_e32 v5, v7, v5
	v_mul_f32_e32 v7, 0x3f763a35, v166
	v_add_f32_e32 v4, v6, v4
	v_mul_f32_e32 v6, 0x3f06c442, v162
	v_fma_f32 v8, 0xbe8c1d8e, v135, -v7
	v_fmac_f32_e32 v7, 0xbe8c1d8e, v135
	v_add_f32_e32 v5, v8, v5
	v_mul_f32_e32 v8, 0x3eb8f4ab, v168
	v_add_f32_e32 v4, v7, v4
	v_fma_f32 v7, 0xbf59a7d5, v128, -v6
	v_fmac_f32_e32 v6, 0xbf59a7d5, v128
	v_fma_f32 v9, 0x3f6eb680, v139, -v8
	v_fmac_f32_e32 v8, 0x3f6eb680, v139
	v_add_f32_e32 v5, v9, v5
	v_mul_f32_e32 v9, 0xbf65296c, v171
	v_add_f32_e32 v4, v8, v4
	v_fma_f32 v10, 0x3ee437d1, v143, -v9
	v_fmac_f32_e32 v9, 0x3ee437d1, v143
	v_add_f32_e32 v5, v10, v5
	v_mul_f32_e32 v10, 0xbf06c442, v172
	v_add_f32_e32 v4, v9, v4
	v_mul_f32_e32 v9, 0x3f06c442, v147
	v_fma_f32 v11, 0xbf59a7d5, v154, -v10
	v_fmac_f32_e32 v10, 0xbf59a7d5, v154
	v_add_f32_e32 v5, v11, v5
	v_mul_f32_e32 v11, 0x3f4c4adb, v173
	v_add_f32_e32 v4, v10, v4
	v_fmamk_f32 v10, v125, 0xbf59a7d5, v9
	v_fma_f32 v108, 0xbf1a4643, v159, -v11
	v_fmac_f32_e32 v11, 0xbf1a4643, v159
	v_add_f32_e32 v5, v108, v5
	v_fma_f32 v108, 0x3f3d2fb0, v165, -v110
	v_add_f32_e32 v4, v11, v4
	v_fmac_f32_e32 v110, 0x3f3d2fb0, v165
	v_add_f32_e32 v108, v108, v5
	v_mul_f32_e32 v5, 0xbf7ee86f, v144
	v_add_f32_e32 v110, v110, v4
	v_fmamk_f32 v109, v124, 0x3dbcf732, v5
	v_fma_f32 v4, 0x3dbcf732, v124, -v5
	v_fma_f32 v5, 0xbf7ba420, v125, -v111
	v_add_f32_e32 v109, v97, v109
	v_add_f32_e32 v4, v97, v4
	;; [unrolled: 1-line block ×3, first 2 shown]
	v_mul_f32_e32 v114, 0x3f763a35, v153
	v_add_f32_e32 v4, v5, v4
	v_fmamk_f32 v115, v131, 0xbe8c1d8e, v114
	v_fma_f32 v5, 0xbe8c1d8e, v131, -v114
	v_add_f32_e32 v109, v115, v109
	v_mul_f32_e32 v115, 0x3eb8f4ab, v160
	v_add_f32_e32 v4, v5, v4
	v_fmamk_f32 v116, v133, 0x3f6eb680, v115
	v_fma_f32 v5, 0x3f6eb680, v133, -v115
	v_fmamk_f32 v115, v155, 0xbf1a4643, v136
	v_add_f32_e32 v109, v116, v109
	v_mul_f32_e32 v116, 0xbf65296c, v163
	v_add_f32_e32 v4, v5, v4
	v_fmamk_f32 v117, v137, 0x3ee437d1, v116
	v_fma_f32 v5, 0x3ee437d1, v137, -v116
	v_mul_f32_e32 v116, 0xbf65296c, v168
	v_add_f32_e32 v109, v117, v109
	v_mul_f32_e32 v117, 0xbf06c442, v167
	v_add_f32_e32 v4, v5, v4
	v_fmamk_f32 v118, v141, 0xbf59a7d5, v117
	v_fma_f32 v5, 0xbf59a7d5, v141, -v117
	v_mul_f32_e32 v117, 0xbf65296c, v160
	;; [unrolled: 6-line block ×3, first 2 shown]
	v_add_f32_e32 v109, v119, v109
	v_mul_f32_e32 v119, 0x3f2c7751, v170
	v_add_f32_e32 v4, v5, v4
	v_fma_f32 v5, 0x3f3d2fb0, v155, -v119
	v_fmamk_f32 v120, v155, 0x3f3d2fb0, v119
	v_mul_f32_e32 v119, 0xbe3c28d5, v163
	v_add_f32_e32 v111, v5, v4
	v_mul_f32_e32 v4, 0xbf763a35, v152
	v_add_f32_e32 v109, v120, v109
	v_mul_f32_e32 v120, 0x3f7ee86f, v172
	v_fma_f32 v5, 0xbe8c1d8e, v126, -v4
	v_fmac_f32_e32 v4, 0xbe8c1d8e, v126
	v_add_f32_e32 v5, v96, v5
	v_add_f32_e32 v4, v96, v4
	;; [unrolled: 1-line block ×3, first 2 shown]
	v_mul_f32_e32 v7, 0xbf763a35, v144
	v_add_f32_e32 v4, v6, v4
	v_fma_f32 v6, 0xbf59a7d5, v125, -v9
	v_fmamk_f32 v8, v124, 0xbe8c1d8e, v7
	v_add_f32_e32 v8, v97, v8
	v_add_f32_e32 v8, v10, v8
	v_mul_f32_e32 v10, 0x3f2c7751, v166
	v_fma_f32 v11, 0x3f3d2fb0, v135, -v10
	v_fmac_f32_e32 v10, 0x3f3d2fb0, v135
	v_add_f32_e32 v5, v11, v5
	v_mul_f32_e32 v11, 0x3f2c7751, v153
	v_add_f32_e32 v4, v10, v4
	v_fmamk_f32 v114, v131, 0x3f3d2fb0, v11
	v_add_f32_e32 v8, v114, v8
	v_fma_f32 v114, 0x3ee437d1, v139, -v116
	v_fmac_f32_e32 v116, 0x3ee437d1, v139
	v_add_f32_e32 v5, v114, v5
	v_fmamk_f32 v114, v133, 0x3ee437d1, v117
	v_add_f32_e32 v4, v116, v4
	v_add_f32_e32 v8, v114, v8
	v_fma_f32 v114, 0xbf7ba420, v143, -v118
	v_fmac_f32_e32 v118, 0xbf7ba420, v143
	v_add_f32_e32 v5, v114, v5
	v_fmamk_f32 v114, v137, 0xbf7ba420, v119
	v_add_f32_e32 v4, v118, v4
	v_mul_f32_e32 v118, 0x3f65296c, v174
	v_add_f32_e32 v8, v114, v8
	v_fma_f32 v114, 0x3dbcf732, v154, -v120
	v_fmac_f32_e32 v120, 0x3dbcf732, v154
	v_add_f32_e32 v5, v114, v5
	v_fmamk_f32 v114, v141, 0x3dbcf732, v121
	v_add_f32_e32 v4, v120, v4
	v_add_f32_e32 v8, v114, v8
	v_fma_f32 v114, 0x3f6eb680, v159, -v130
	v_fmac_f32_e32 v130, 0x3f6eb680, v159
	v_add_f32_e32 v5, v114, v5
	v_fmamk_f32 v114, v149, 0x3f6eb680, v132
	v_add_f32_e32 v4, v130, v4
	v_add_f32_e32 v8, v114, v8
	v_fma_f32 v114, 0xbf1a4643, v165, -v134
	v_fmac_f32_e32 v134, 0xbf1a4643, v165
	v_add_f32_e32 v115, v115, v8
	v_add_f32_e32 v114, v114, v5
	v_fma_f32 v5, 0xbe8c1d8e, v124, -v7
	v_add_f32_e32 v120, v134, v4
	v_mul_f32_e32 v4, 0xbf4c4adb, v152
	v_add_f32_e32 v5, v97, v5
	v_add_f32_e32 v5, v6, v5
	v_fma_f32 v6, 0x3f3d2fb0, v131, -v11
	v_add_f32_e32 v5, v6, v5
	v_fma_f32 v6, 0x3ee437d1, v133, -v117
	;; [unrolled: 2-line block ×3, first 2 shown]
	v_mul_f32_e32 v119, 0x3f763a35, v147
	v_add_f32_e32 v5, v6, v5
	v_fma_f32 v6, 0x3dbcf732, v141, -v121
	v_fmamk_f32 v130, v125, 0xbe8c1d8e, v119
	v_add_f32_e32 v5, v6, v5
	v_fma_f32 v6, 0x3f6eb680, v149, -v132
	v_add_f32_e32 v5, v6, v5
	v_fma_f32 v6, 0xbf1a4643, v155, -v136
	;; [unrolled: 2-line block ×3, first 2 shown]
	v_mul_f32_e32 v6, 0x3f763a35, v162
	v_fmac_f32_e32 v4, 0xbf1a4643, v126
	v_add_f32_e32 v5, v96, v5
	v_fma_f32 v7, 0xbe8c1d8e, v128, -v6
	v_add_f32_e32 v4, v96, v4
	v_fmac_f32_e32 v6, 0xbe8c1d8e, v128
	v_add_f32_e32 v5, v7, v5
	v_mul_f32_e32 v7, 0xbeb8f4ab, v166
	v_add_f32_e32 v4, v6, v4
	v_mul_f32_e32 v6, 0x3f65296c, v162
	v_fma_f32 v8, 0x3f6eb680, v135, -v7
	v_fmac_f32_e32 v7, 0x3f6eb680, v135
	v_add_f32_e32 v5, v8, v5
	v_mul_f32_e32 v8, 0xbf06c442, v168
	v_add_f32_e32 v4, v7, v4
	v_fma_f32 v7, 0x3ee437d1, v128, -v6
	v_fmac_f32_e32 v6, 0x3ee437d1, v128
	v_fma_f32 v9, 0xbf59a7d5, v139, -v8
	v_fmac_f32_e32 v8, 0xbf59a7d5, v139
	v_add_f32_e32 v5, v9, v5
	v_mul_f32_e32 v9, 0x3f7ee86f, v171
	v_add_f32_e32 v4, v8, v4
	v_fma_f32 v10, 0x3dbcf732, v143, -v9
	v_fmac_f32_e32 v9, 0x3dbcf732, v143
	v_add_f32_e32 v5, v10, v5
	v_mul_f32_e32 v10, 0xbf2c7751, v172
	v_add_f32_e32 v4, v9, v4
	v_mul_f32_e32 v9, 0x3f65296c, v147
	v_fma_f32 v11, 0x3f3d2fb0, v154, -v10
	v_fmac_f32_e32 v10, 0x3f3d2fb0, v154
	v_add_f32_e32 v5, v11, v5
	v_mul_f32_e32 v11, 0xbe3c28d5, v173
	v_add_f32_e32 v4, v10, v4
	v_fmamk_f32 v10, v125, 0x3ee437d1, v9
	v_fma_f32 v116, 0xbf7ba420, v159, -v11
	v_fmac_f32_e32 v11, 0xbf7ba420, v159
	v_add_f32_e32 v5, v116, v5
	v_fma_f32 v116, 0x3ee437d1, v165, -v118
	v_add_f32_e32 v4, v11, v4
	v_fmac_f32_e32 v118, 0x3ee437d1, v165
	v_add_f32_e32 v116, v116, v5
	v_mul_f32_e32 v5, 0xbf4c4adb, v144
	v_add_f32_e32 v118, v118, v4
	v_fmamk_f32 v117, v124, 0xbf1a4643, v5
	v_fma_f32 v4, 0xbf1a4643, v124, -v5
	v_fma_f32 v5, 0xbe8c1d8e, v125, -v119
	v_add_f32_e32 v117, v97, v117
	v_add_f32_e32 v4, v97, v4
	;; [unrolled: 1-line block ×3, first 2 shown]
	v_mul_f32_e32 v130, 0xbeb8f4ab, v153
	v_add_f32_e32 v4, v5, v4
	v_fmamk_f32 v132, v131, 0x3f6eb680, v130
	v_fma_f32 v5, 0x3f6eb680, v131, -v130
	v_add_f32_e32 v117, v132, v117
	v_mul_f32_e32 v132, 0xbf06c442, v160
	v_add_f32_e32 v4, v5, v4
	v_fmamk_f32 v134, v133, 0xbf59a7d5, v132
	v_fma_f32 v5, 0xbf59a7d5, v133, -v132
	v_add_f32_e32 v117, v134, v117
	;; [unrolled: 5-line block ×5, first 2 shown]
	v_mul_f32_e32 v140, 0x3f65296c, v170
	v_add_f32_e32 v4, v5, v4
	v_fma_f32 v5, 0x3ee437d1, v155, -v140
	v_fmamk_f32 v142, v155, 0x3ee437d1, v140
	v_add_f32_e32 v119, v5, v4
	v_mul_f32_e32 v4, 0xbf06c442, v152
	v_add_f32_e32 v117, v142, v117
	v_fma_f32 v5, 0xbf59a7d5, v126, -v4
	v_fmac_f32_e32 v4, 0xbf59a7d5, v126
	v_add_f32_e32 v5, v96, v5
	v_add_f32_e32 v4, v96, v4
	;; [unrolled: 1-line block ×3, first 2 shown]
	v_mul_f32_e32 v7, 0xbf06c442, v144
	v_add_f32_e32 v4, v6, v4
	v_fma_f32 v6, 0x3ee437d1, v125, -v9
	v_fmamk_f32 v8, v124, 0xbf59a7d5, v7
	v_add_f32_e32 v8, v97, v8
	v_add_f32_e32 v8, v10, v8
	v_mul_f32_e32 v10, 0xbf7ee86f, v166
	v_fma_f32 v11, 0x3dbcf732, v135, -v10
	v_fmac_f32_e32 v10, 0x3dbcf732, v135
	v_add_f32_e32 v5, v11, v5
	v_mul_f32_e32 v11, 0xbf7ee86f, v153
	v_add_f32_e32 v4, v10, v4
	v_fmamk_f32 v130, v131, 0x3dbcf732, v11
	v_add_f32_e32 v8, v130, v8
	v_mul_f32_e32 v130, 0x3f4c4adb, v168
	v_fma_f32 v132, 0xbf1a4643, v139, -v130
	v_fmac_f32_e32 v130, 0xbf1a4643, v139
	v_add_f32_e32 v5, v132, v5
	v_mul_f32_e32 v132, 0x3f4c4adb, v160
	v_add_f32_e32 v4, v130, v4
	v_fmamk_f32 v134, v133, 0xbf1a4643, v132
	;; [unrolled: 8-line block ×5, first 2 shown]
	v_add_f32_e32 v8, v150, v8
	v_fma_f32 v150, 0xbe8c1d8e, v165, -v156
	v_fmac_f32_e32 v156, 0xbe8c1d8e, v165
	v_add_f32_e32 v151, v151, v8
	v_add_f32_e32 v150, v150, v5
	v_fma_f32 v5, 0xbf59a7d5, v124, -v7
	v_add_f32_e32 v156, v156, v4
	v_mul_f32_e32 v4, 0xbe3c28d5, v152
	v_add_f32_e32 v5, v97, v5
	v_add_f32_e32 v5, v6, v5
	v_fma_f32 v6, 0x3dbcf732, v131, -v11
	v_add_f32_e32 v5, v6, v5
	v_fma_f32 v6, 0xbf1a4643, v133, -v132
	;; [unrolled: 2-line block ×6, first 2 shown]
	v_add_f32_e32 v157, v6, v5
	v_mul_f32_e32 v5, 0x3eb8f4ab, v162
	v_fma_f32 v6, 0xbf7ba420, v126, -v4
	v_fmac_f32_e32 v4, 0xbf7ba420, v126
	v_fma_f32 v7, 0x3f6eb680, v128, -v5
	v_add_f32_e32 v6, v96, v6
	v_fmac_f32_e32 v5, 0x3f6eb680, v128
	v_add_f32_e32 v4, v96, v4
	v_add_f32_e32 v6, v7, v6
	v_mul_f32_e32 v7, 0xbf06c442, v166
	v_add_f32_e32 v4, v5, v4
	v_fma_f32 v8, 0xbf59a7d5, v135, -v7
	v_fmac_f32_e32 v7, 0xbf59a7d5, v135
	v_add_f32_e32 v6, v8, v6
	v_mul_f32_e32 v8, 0x3f2c7751, v168
	v_add_f32_e32 v4, v7, v4
	v_fma_f32 v9, 0x3f3d2fb0, v139, -v8
	v_fmac_f32_e32 v8, 0x3f3d2fb0, v139
	;; [unrolled: 5-line block ×6, first 2 shown]
	v_add_f32_e32 v152, v132, v6
	v_mul_f32_e32 v6, 0xbe3c28d5, v144
	v_mul_f32_e32 v132, 0x3eb8f4ab, v147
	v_add_f32_e32 v154, v130, v4
	v_fmamk_f32 v134, v124, 0xbf7ba420, v6
	v_fmamk_f32 v136, v125, 0x3f6eb680, v132
	v_fma_f32 v4, 0xbf7ba420, v124, -v6
	v_fma_f32 v5, 0x3f6eb680, v125, -v132
	v_add_f32_e32 v134, v97, v134
	v_add_f32_e32 v4, v97, v4
	;; [unrolled: 1-line block ×3, first 2 shown]
	v_mul_f32_e32 v136, 0xbf06c442, v153
	v_add_f32_e32 v4, v5, v4
	v_fmamk_f32 v138, v131, 0xbf59a7d5, v136
	v_fma_f32 v5, 0xbf59a7d5, v131, -v136
	v_add_f32_e32 v134, v138, v134
	v_mul_f32_e32 v138, 0x3f2c7751, v160
	v_add_f32_e32 v4, v5, v4
	v_fmamk_f32 v140, v133, 0x3f3d2fb0, v138
	v_fma_f32 v5, 0x3f3d2fb0, v133, -v138
	v_add_f32_e32 v134, v140, v134
	;; [unrolled: 5-line block ×5, first 2 shown]
	v_mul_f32_e32 v145, 0x3f7ee86f, v170
	v_add_f32_e32 v4, v5, v4
	v_fma_f32 v5, 0x3dbcf732, v155, -v145
	v_fmamk_f32 v147, v155, 0x3dbcf732, v145
	v_add_f32_e32 v155, v5, v4
	buffer_load_dword v4, off, s[20:23], 0 offset:344 ; 4-byte Folded Reload
	v_add_f32_e32 v153, v147, v134
	s_waitcnt vmcnt(0)
	v_and_b32_e32 v4, 0xff, v4
	buffer_store_dword v4, off, s[20:23], 0 offset:8 ; 4-byte Folded Spill
	s_and_saveexec_b32 s10, vcc_lo
	s_cbranch_execz .LBB0_5
; %bb.4:
	buffer_load_dword v6, off, s[20:23], 0 offset:8 ; 4-byte Folded Reload
	v_add_f32_e32 v4, v97, v129
	v_add_f32_e32 v5, v96, v127
	v_add_f32_e32 v4, v4, v14
	v_add_f32_e32 v5, v5, v176
	v_add_f32_e32 v4, v4, v21
	v_add_f32_e32 v5, v5, v13
	v_add_f32_e32 v4, v4, v17
	v_add_f32_e32 v5, v5, v16
	v_add_f32_e32 v4, v4, v19
	v_add_f32_e32 v5, v5, v18
	v_add_f32_e32 v4, v4, v23
	v_add_f32_e32 v5, v5, v179
	v_add_f32_e32 v4, v4, v25
	v_add_f32_e32 v5, v5, v24
	v_add_f32_e32 v4, v4, v27
	v_add_f32_e32 v5, v5, v26
	v_add_f32_e32 v4, v4, v15
	v_add_f32_e32 v5, v5, v175
	v_add_f32_e32 v4, v4, v146
	v_add_f32_e32 v5, v5, v178
	v_add_f32_e32 v4, v4, v148
	v_add_f32_e32 v5, v5, v180
	v_add_f32_e32 v4, v4, v158
	v_add_f32_e32 v5, v5, v181
	v_add_f32_e32 v4, v4, v164
	v_add_f32_e32 v5, v5, v183
	v_add_f32_e32 v4, v4, v161
	v_add_f32_e32 v5, v5, v182
	v_add_f32_e32 v4, v4, v22
	v_add_f32_e32 v5, v5, v177
	v_add_f32_e32 v4, v4, v3
	v_add_f32_e32 v3, v5, v1
	s_waitcnt vmcnt(0)
	v_lshl_add_u32 v6, v6, 3, v12
	v_add_nc_u32_e32 v7, 0x800, v6
	v_add_nc_u32_e32 v8, 0x1000, v6
	ds_write2_b64 v7, v[100:101], v[106:107] offset0:234 offset1:241
	ds_write2_b64 v7, v[108:109], v[114:115] offset0:248 offset1:255
	ds_write2_b64 v8, v[116:117], v[150:151] offset0:6 offset1:13
	ds_write2_b64 v8, v[152:153], v[154:155] offset0:20 offset1:27
	ds_write2_b64 v8, v[156:157], v[118:119] offset0:34 offset1:41
	ds_write2_b64 v8, v[120:121], v[110:111] offset0:48 offset1:55
	ds_write2_b64 v8, v[112:113], v[102:103] offset0:62 offset1:69
	ds_write2_b64 v7, v[3:4], v[98:99] offset0:220 offset1:227
	ds_write_b64 v6, v[104:105] offset:4704
.LBB0_5:
	s_or_b32 exec_lo, exec_lo, s10
	buffer_load_dword v24, off, s[20:23], 0 ; 4-byte Folded Reload
	s_waitcnt vmcnt(0) lgkmcnt(0)
	s_waitcnt_vscnt null, 0x0
	s_barrier
	buffer_gl0_inv
	buffer_load_dword v1, off, s[20:23], 0 offset:340 ; 4-byte Folded Reload
	v_lshlrev_b32_e32 v3, 5, v20
	v_add_nc_u32_e32 v193, 0xc00, v255
	v_lshlrev_b32_e32 v96, 5, v24
	v_lshl_add_u32 v254, v24, 3, v12
	s_waitcnt vmcnt(0)
	v_lshlrev_b32_e32 v1, 5, v1
	s_clause 0x5
	global_load_dwordx4 v[146:149], v96, s[2:3] offset:896
	global_load_dwordx4 v[134:137], v96, s[2:3] offset:912
	;; [unrolled: 1-line block ×6, first 2 shown]
	v_add_nc_u32_e32 v1, 0xcc0, v96
	s_clause 0x1
	global_load_dwordx4 v[122:125], v1, s[2:3] offset:896
	global_load_dwordx4 v[158:161], v1, s[2:3] offset:912
	v_add_nc_u32_e32 v1, 0x800, v255
	ds_read2_b64 v[4:7], v255 offset0:238 offset1:255
	ds_read2_b64 v[162:165], v1 offset0:84 offset1:101
	;; [unrolled: 1-line block ×5, first 2 shown]
	ds_read2_b64 v[178:181], v255 offset1:17
	ds_read2_b64 v[182:185], v1 offset0:118 offset1:135
	v_add_nc_u32_e32 v3, 0x1000, v255
	ds_read_b64 v[226:227], v255 offset:4624
	ds_read2_b64 v[194:197], v255 offset0:34 offset1:51
	ds_read2_b64 v[198:201], v255 offset0:170 offset1:187
	;; [unrolled: 1-line block ×6, first 2 shown]
	s_waitcnt vmcnt(7) lgkmcnt(13)
	v_mul_f32_e32 v8, v5, v149
	s_waitcnt vmcnt(6) lgkmcnt(12)
	v_mul_f32_e32 v10, v165, v135
	v_mul_f32_e32 v9, v4, v149
	s_waitcnt lgkmcnt(11)
	v_mul_f32_e32 v11, v167, v137
	s_waitcnt vmcnt(5)
	v_mul_f32_e32 v97, v7, v133
	v_mul_f32_e32 v191, v166, v137
	s_waitcnt vmcnt(4)
	v_mul_f32_e32 v214, v169, v145
	v_mul_f32_e32 v233, v164, v135
	s_waitcnt lgkmcnt(9)
	v_mul_f32_e32 v218, v177, v147
	v_mul_f32_e32 v234, v176, v147
	v_fma_f32 v8, v4, v148, -v8
	v_fma_f32 v10, v164, v134, -v10
	v_mul_f32_e32 v192, v6, v133
	v_mul_f32_e32 v228, v168, v145
	v_fmac_f32_e32 v9, v5, v148
	v_fma_f32 v235, v6, v132, -v97
	v_fma_f32 v11, v166, v136, -v11
	v_fmac_f32_e32 v191, v167, v136
	v_fma_f32 v236, v168, v144, -v214
	v_fma_f32 v168, v176, v146, -v218
	v_fmac_f32_e32 v233, v165, v134
	v_fmac_f32_e32 v234, v177, v146
	v_add_f32_e32 v6, v8, v10
	v_mul_f32_e32 v229, v170, v131
	s_waitcnt lgkmcnt(7)
	v_mul_f32_e32 v215, v183, v143
	s_waitcnt vmcnt(3)
	v_mul_f32_e32 v216, v173, v127
	v_mul_f32_e32 v231, v182, v143
	s_waitcnt vmcnt(2)
	v_mul_f32_e32 v217, v185, v139
	v_fmac_f32_e32 v192, v7, v132
	v_sub_f32_e32 v4, v168, v8
	v_sub_f32_e32 v5, v11, v10
	v_add_f32_e32 v7, v9, v233
	v_sub_f32_e32 v97, v234, v9
	v_fma_f32 v164, -0.5, v6, v178
	v_sub_f32_e32 v6, v191, v233
	v_mul_f32_e32 v190, v171, v131
	v_fmac_f32_e32 v229, v171, v130
	v_fma_f32 v237, v172, v126, -v216
	v_fma_f32 v171, v182, v142, -v215
	v_fmac_f32_e32 v231, v183, v142
	v_fma_f32 v238, v184, v138, -v217
	v_fma_f32 v165, -0.5, v7, v179
	v_add_f32_e32 v182, v4, v5
	v_add_f32_e32 v183, v97, v6
	ds_read2_b64 v[4:7], v1 offset0:152 offset1:169
	ds_read2_b64 v[214:217], v1 offset0:50 offset1:67
	;; [unrolled: 1-line block ×4, first 2 shown]
	buffer_load_dword v12, off, s[20:23], 0 offset:336 ; 4-byte Folded Reload
	v_mul_f32_e32 v230, v172, v127
	v_fmac_f32_e32 v228, v169, v144
	v_sub_f32_e32 v172, v234, v191
	s_waitcnt vmcnt(2)
	v_mul_f32_e32 v169, v163, v125
	v_fma_f32 v170, v170, v130, -v190
	v_fmac_f32_e32 v230, v173, v126
	v_sub_f32_e32 v173, v168, v11
	v_sub_f32_e32 v176, v9, v233
	;; [unrolled: 1-line block ×3, first 2 shown]
	v_fmamk_f32 v166, v172, 0x3f737871, v164
	v_mul_f32_e32 v97, v162, v125
	v_fmamk_f32 v167, v173, 0xbf737871, v165
	v_fma_f32 v190, v162, v124, -v169
	v_add_f32_e32 v162, v178, v168
	v_fmac_f32_e32 v166, 0x3f167918, v176
	v_fmac_f32_e32 v97, v163, v124
	;; [unrolled: 1-line block ×3, first 2 shown]
	v_add_f32_e32 v163, v179, v234
	v_add_f32_e32 v162, v162, v8
	v_fmac_f32_e32 v166, 0x3e9e377a, v182
	v_sub_f32_e32 v8, v8, v168
	v_fmac_f32_e32 v167, 0x3e9e377a, v183
	v_add_f32_e32 v163, v163, v9
	v_add_f32_e32 v162, v162, v10
	v_sub_f32_e32 v10, v10, v11
	v_sub_f32_e32 v9, v9, v234
	ds_write_b64 v254, v[166:167] offset:952
	v_add_f32_e32 v166, v168, v11
	v_add_f32_e32 v162, v162, v11
	;; [unrolled: 1-line block ×3, first 2 shown]
	v_sub_f32_e32 v168, v233, v191
	v_add_f32_e32 v8, v8, v10
	v_fma_f32 v166, -0.5, v166, v178
	v_add_f32_e32 v10, v180, v170
	v_fma_f32 v167, -0.5, v11, v179
	v_add_f32_e32 v9, v9, v168
	v_add_f32_e32 v11, v181, v229
	v_fmamk_f32 v168, v176, 0xbf737871, v166
	v_fmac_f32_e32 v166, 0x3f737871, v176
	v_fmamk_f32 v169, v177, 0x3f737871, v167
	v_fmac_f32_e32 v167, 0xbf737871, v177
	v_fmac_f32_e32 v164, 0xbf737871, v172
	;; [unrolled: 1-line block ×4, first 2 shown]
	v_add_f32_e32 v10, v10, v235
	v_fmac_f32_e32 v167, 0x3f167918, v173
	v_add_f32_e32 v11, v11, v192
	v_add_f32_e32 v163, v163, v233
	v_fmac_f32_e32 v168, 0x3f167918, v172
	v_fmac_f32_e32 v169, 0xbf167918, v173
	;; [unrolled: 1-line block ×6, first 2 shown]
	v_add_f32_e32 v10, v10, v171
	v_add_f32_e32 v11, v11, v231
	;; [unrolled: 1-line block ×3, first 2 shown]
	v_fmac_f32_e32 v168, 0x3e9e377a, v8
	v_fmac_f32_e32 v169, 0x3e9e377a, v9
	v_add_f32_e32 v8, v235, v171
	v_add_f32_e32 v9, v170, v236
	v_fmac_f32_e32 v164, 0x3e9e377a, v182
	v_fmac_f32_e32 v165, 0x3e9e377a, v183
	ds_write_b64 v254, v[166:167] offset:2856
	v_add_f32_e32 v172, v192, v231
	v_add_f32_e32 v173, v229, v228
	;; [unrolled: 1-line block ×4, first 2 shown]
	ds_write_b64 v254, v[168:169] offset:1904
	v_sub_f32_e32 v168, v235, v170
	v_sub_f32_e32 v169, v171, v236
	ds_write_b64 v254, v[164:165] offset:3808
	v_sub_f32_e32 v176, v192, v229
	v_fma_f32 v164, -0.5, v8, v180
	v_fma_f32 v180, -0.5, v9, v180
	v_sub_f32_e32 v8, v231, v228
	v_fma_f32 v165, -0.5, v172, v181
	v_sub_f32_e32 v9, v192, v231
	v_fmac_f32_e32 v181, -0.5, v173
	v_sub_f32_e32 v10, v235, v171
	ds_write2_b64 v255, v[162:163], v[166:167] offset1:17
	v_sub_f32_e32 v11, v229, v228
	v_sub_f32_e32 v172, v170, v236
	s_waitcnt lgkmcnt(10)
	v_mul_f32_e32 v166, v207, v129
	s_waitcnt lgkmcnt(9)
	v_mul_f32_e32 v167, v211, v141
	v_mul_f32_e32 v232, v184, v139
	v_fmamk_f32 v162, v9, 0xbf737871, v180
	v_fmac_f32_e32 v180, 0x3f737871, v9
	v_fmamk_f32 v163, v10, 0x3f737871, v181
	v_add_f32_e32 v168, v168, v169
	v_add_f32_e32 v8, v176, v8
	v_mul_f32_e32 v233, v206, v129
	v_mul_f32_e32 v234, v210, v141
	s_waitcnt vmcnt(1)
	v_mul_f32_e32 v169, v227, v161
	v_fma_f32 v239, v206, v128, -v166
	v_fma_f32 v240, v210, v140, -v167
	v_sub_f32_e32 v170, v170, v235
	v_sub_f32_e32 v171, v236, v171
	;; [unrolled: 1-line block ×4, first 2 shown]
	v_fmamk_f32 v166, v11, 0x3f737871, v164
	v_fmamk_f32 v167, v172, 0xbf737871, v165
	v_fmac_f32_e32 v232, v185, v138
	v_fmac_f32_e32 v180, 0xbf167918, v11
	v_mul_f32_e32 v191, v226, v161
	v_fmac_f32_e32 v233, v207, v128
	v_fmac_f32_e32 v234, v211, v140
	s_waitcnt lgkmcnt(5)
	v_mul_f32_e32 v173, v225, v159
	v_mul_f32_e32 v178, v205, v123
	v_add_f32_e32 v170, v170, v171
	v_add_f32_e32 v171, v176, v177
	v_fmac_f32_e32 v166, 0x3f167918, v9
	v_fmac_f32_e32 v167, 0xbf167918, v10
	v_mul_f32_e32 v192, v224, v159
	v_mul_f32_e32 v228, v204, v123
	v_fma_f32 v226, v226, v160, -v169
	v_sub_f32_e32 v169, v237, v239
	v_sub_f32_e32 v176, v240, v238
	v_fmac_f32_e32 v162, 0x3f167918, v11
	v_fmac_f32_e32 v163, 0xbf167918, v172
	;; [unrolled: 1-line block ×7, first 2 shown]
	v_add_f32_e32 v227, v169, v176
	v_sub_f32_e32 v169, v230, v233
	v_fmac_f32_e32 v162, 0x3e9e377a, v168
	v_sub_f32_e32 v168, v234, v232
	v_fma_f32 v224, v224, v158, -v173
	v_fma_f32 v229, v204, v122, -v178
	v_fmac_f32_e32 v192, v225, v158
	v_fmac_f32_e32 v228, v205, v122
	;; [unrolled: 1-line block ×5, first 2 shown]
	ds_write_b64 v254, v[166:167] offset:1088
	v_add_f32_e32 v166, v239, v238
	v_add_f32_e32 v167, v233, v232
	;; [unrolled: 1-line block ×4, first 2 shown]
	ds_write_b64 v254, v[162:163] offset:2040
	v_add_f32_e32 v162, v229, v226
	v_fmac_f32_e32 v164, 0xbf737871, v11
	v_add_f32_e32 v11, v97, v192
	v_fmac_f32_e32 v165, 0x3f167918, v10
	;; [unrolled: 2-line block ×3, first 2 shown]
	v_fma_f32 v166, -0.5, v166, v194
	v_fma_f32 v167, -0.5, v167, v195
	v_sub_f32_e32 v8, v230, v234
	v_add_f32_e32 v231, v174, v229
	v_fma_f32 v204, -0.5, v168, v174
	v_fma_f32 v174, -0.5, v162, v174
	v_sub_f32_e32 v162, v190, v229
	v_fma_f32 v205, -0.5, v11, v175
	v_sub_f32_e32 v11, v224, v226
	v_fmac_f32_e32 v164, 0xbf167918, v9
	v_sub_f32_e32 v9, v237, v240
	v_add_f32_e32 v235, v175, v228
	v_fmac_f32_e32 v175, -0.5, v10
	v_sub_f32_e32 v242, v97, v192
	v_sub_f32_e32 v243, v190, v224
	v_add_f32_e32 v11, v162, v11
	v_sub_f32_e32 v162, v97, v228
	v_sub_f32_e32 v163, v192, v191
	;; [unrolled: 1-line block ×4, first 2 shown]
	v_fmamk_f32 v206, v8, 0x3f737871, v166
	v_fmac_f32_e32 v166, 0xbf737871, v8
	v_fmamk_f32 v207, v9, 0xbf737871, v167
	v_fmac_f32_e32 v167, 0x3f737871, v9
	;; [unrolled: 2-line block ×4, first 2 shown]
	v_sub_f32_e32 v244, v228, v191
	v_sub_f32_e32 v245, v229, v226
	v_add_f32_e32 v236, v162, v163
	v_fmac_f32_e32 v166, 0xbf167918, v10
	v_fmac_f32_e32 v167, 0x3f167918, v241
	;; [unrolled: 1-line block ×10, first 2 shown]
	ds_write_b64 v254, v[180:181] offset:2992
	ds_write_b64 v254, v[164:165] offset:3944
	v_fmac_f32_e32 v206, 0x3f167918, v10
	v_fmac_f32_e32 v207, 0xbf167918, v241
	ds_write2_b64 v1, v[174:175], v[166:167] offset0:203 offset1:254
	v_fmac_f32_e32 v210, 0x3f167918, v244
	v_fmac_f32_e32 v211, 0xbf167918, v245
	;; [unrolled: 1-line block ×6, first 2 shown]
	s_waitcnt vmcnt(0)
	v_lshlrev_b32_e32 v162, 5, v12
	s_clause 0x1
	global_load_dwordx4 v[174:177], v162, s[2:3] offset:896
	global_load_dwordx4 v[182:185], v162, s[2:3] offset:912
	buffer_load_dword v12, off, s[20:23], 0 offset:332 ; 4-byte Folded Reload
	s_waitcnt vmcnt(2)
	v_mul_f32_e32 v162, v209, v177
	s_waitcnt vmcnt(1)
	v_mul_f32_e32 v251, v4, v183
	v_mul_f32_e32 v163, v199, v175
	;; [unrolled: 1-line block ×3, first 2 shown]
	v_fma_f32 v246, v208, v176, -v162
	v_mul_f32_e32 v208, v208, v177
	v_mul_f32_e32 v162, v213, v185
	v_fmac_f32_e32 v247, v199, v174
	v_fmac_f32_e32 v251, v5, v182
	;; [unrolled: 1-line block ×3, first 2 shown]
	v_fma_f32 v209, v212, v184, -v162
	s_waitcnt vmcnt(0)
	v_lshlrev_b32_e32 v162, 5, v12
	s_clause 0x1
	global_load_dwordx4 v[178:181], v162, s[2:3] offset:896
	global_load_dwordx4 v[170:173], v162, s[2:3] offset:912
	v_mul_f32_e32 v212, v212, v185
	v_add_f32_e32 v16, v197, v247
	v_fmac_f32_e32 v212, v213, v184
	v_fma_f32 v213, v198, v174, -v163
	v_add_f32_e32 v16, v16, v208
	v_add_f32_e32 v15, v247, v212
	;; [unrolled: 1-line block ×3, first 2 shown]
	v_sub_f32_e32 v17, v251, v212
	v_sub_f32_e32 v19, v247, v212
	;; [unrolled: 1-line block ×3, first 2 shown]
	v_add_f32_e32 v16, v16, v251
	v_add_f32_e32 v13, v13, v246
	s_waitcnt vmcnt(1)
	v_mul_f32_e32 v162, v201, v179
	s_waitcnt vmcnt(0)
	v_mul_f32_e32 v253, v6, v171
	v_mul_f32_e32 v249, v200, v179
	;; [unrolled: 1-line block ×4, first 2 shown]
	v_fma_f32 v248, v200, v178, -v162
	v_mul_f32_e32 v162, v5, v183
	v_fmac_f32_e32 v253, v7, v170
	v_sub_f32_e32 v5, v238, v240
	v_fmac_f32_e32 v249, v201, v178
	v_fma_f32 v21, v218, v172, -v21
	v_fma_f32 v250, v4, v182, -v162
	v_mul_f32_e32 v4, v7, v171
	v_sub_f32_e32 v7, v232, v234
	v_fmac_f32_e32 v22, v219, v172
	v_sub_f32_e32 v14, v250, v209
	v_fma_f32 v252, v6, v170, -v4
	v_add_nc_u32_e32 v4, 0xaa0, v96
	s_clause 0x1
	global_load_dwordx4 v[166:169], v4, s[2:3] offset:896
	global_load_dwordx4 v[162:165], v4, s[2:3] offset:912
	v_sub_f32_e32 v6, v233, v230
	v_sub_f32_e32 v18, v246, v250
	v_add_f32_e32 v13, v13, v250
	s_add_u32 s2, s0, 0x1298
	s_addc_u32 s3, s1, 0
	v_add_f32_e32 v12, v6, v7
	v_add_f32_e32 v6, v246, v250
	;; [unrolled: 1-line block ×3, first 2 shown]
	v_fma_f32 v6, -0.5, v6, v196
	v_fma_f32 v196, -0.5, v7, v196
	v_sub_f32_e32 v7, v246, v213
	v_add_f32_e32 v14, v7, v14
	v_add_f32_e32 v7, v208, v251
	v_fma_f32 v7, -0.5, v7, v197
	v_fmac_f32_e32 v197, -0.5, v15
	v_sub_f32_e32 v15, v208, v247
	v_fmamk_f32 v201, v18, 0x3f737871, v197
	v_add_f32_e32 v15, v15, v17
	v_sub_f32_e32 v17, v208, v251
	v_fmac_f32_e32 v197, 0xbf737871, v18
	v_fmac_f32_e32 v201, 0xbf167918, v20
	v_fmamk_f32 v200, v17, 0xbf737871, v196
	v_fmac_f32_e32 v196, 0x3f737871, v17
	v_fmac_f32_e32 v197, 0x3f167918, v20
	v_fmac_f32_e32 v201, 0x3e9e377a, v15
	v_fmac_f32_e32 v200, 0x3f167918, v19
	v_fmac_f32_e32 v196, 0xbf167918, v19
	v_fmac_f32_e32 v197, 0x3e9e377a, v15
	v_sub_f32_e32 v15, v253, v22
	v_fmac_f32_e32 v200, 0x3e9e377a, v14
	v_fmac_f32_e32 v196, 0x3e9e377a, v14
	s_waitcnt vmcnt(1)
	v_mul_f32_e32 v4, v203, v167
	s_waitcnt vmcnt(0)
	v_mul_f32_e32 v23, v221, v165
	v_mul_f32_e32 v218, v220, v165
	v_fma_f32 v96, v202, v166, -v4
	v_mul_f32_e32 v202, v202, v167
	v_mul_f32_e32 v4, v215, v181
	v_fma_f32 v23, v220, v164, -v23
	v_fmac_f32_e32 v218, v221, v164
	v_fmac_f32_e32 v202, v203, v166
	v_fma_f32 v203, v214, v180, -v4
	v_mul_f32_e32 v214, v214, v181
	v_mul_f32_e32 v4, v217, v169
	v_sub_f32_e32 v219, v96, v23
	v_fmac_f32_e32 v214, v215, v180
	v_fma_f32 v215, v216, v168, -v4
	v_mul_f32_e32 v216, v216, v169
	v_mul_f32_e32 v4, v223, v163
	v_sub_f32_e32 v14, v214, v249
	v_fmac_f32_e32 v216, v217, v168
	v_fma_f32 v217, v222, v162, -v4
	v_mul_f32_e32 v222, v222, v163
	v_sub_f32_e32 v4, v239, v237
	v_add_f32_e32 v14, v14, v15
	v_sub_f32_e32 v15, v214, v253
	v_fmac_f32_e32 v222, v223, v162
	v_add_f32_e32 v223, v4, v5
	v_add_f32_e32 v4, v237, v240
	;; [unrolled: 1-line block ×3, first 2 shown]
	v_fma_f32 v4, -0.5, v4, v194
	v_fma_f32 v5, -0.5, v5, v195
	v_fmamk_f32 v198, v10, 0xbf737871, v4
	v_fmac_f32_e32 v4, 0x3f737871, v10
	v_fmamk_f32 v199, v241, 0x3f737871, v5
	v_fmac_f32_e32 v5, 0xbf737871, v241
	v_sub_f32_e32 v10, v247, v208
	v_sub_f32_e32 v208, v248, v21
	v_fmac_f32_e32 v4, 0xbf167918, v8
	v_fmac_f32_e32 v198, 0x3f167918, v8
	;; [unrolled: 1-line block ×3, first 2 shown]
	v_sub_f32_e32 v8, v228, v97
	v_fmac_f32_e32 v199, 0xbf167918, v9
	v_fmac_f32_e32 v4, 0x3e9e377a, v223
	v_add_f32_e32 v9, v235, v97
	v_fmac_f32_e32 v5, 0x3e9e377a, v12
	v_fmac_f32_e32 v198, 0x3e9e377a, v223
	;; [unrolled: 1-line block ×3, first 2 shown]
	v_add_f32_e32 v9, v9, v192
	ds_write2_b64 v1, v[4:5], v[196:197] offset0:135 offset1:152
	v_add_f32_e32 v4, v194, v237
	v_add_f32_e32 v5, v195, v230
	;; [unrolled: 1-line block ×4, first 2 shown]
	v_sub_f32_e32 v13, v212, v251
	v_add_f32_e32 v4, v4, v239
	v_add_f32_e32 v5, v5, v233
	v_sub_f32_e32 v196, v222, v218
	v_sub_f32_e32 v212, v202, v218
	v_add_f32_e32 v10, v10, v13
	v_add_f32_e32 v4, v4, v238
	;; [unrolled: 1-line block ×5, first 2 shown]
	ds_write2_b64 v255, v[4:5], v[194:195] offset0:34 offset1:51
	v_sub_f32_e32 v4, v213, v246
	v_sub_f32_e32 v5, v209, v250
	;; [unrolled: 1-line block ×4, first 2 shown]
	v_add_f32_e32 v16, v4, v5
	v_fmamk_f32 v4, v19, 0x3f737871, v6
	v_fmamk_f32 v5, v20, 0xbf737871, v7
	v_fmac_f32_e32 v6, 0xbf737871, v19
	v_fmac_f32_e32 v7, 0x3f737871, v20
	v_sub_f32_e32 v19, v218, v222
	v_fmac_f32_e32 v4, 0x3f167918, v17
	v_fmac_f32_e32 v5, 0xbf167918, v18
	;; [unrolled: 1-line block ×4, first 2 shown]
	v_sub_f32_e32 v17, v22, v253
	v_fmac_f32_e32 v4, 0x3e9e377a, v16
	v_fmac_f32_e32 v5, 0x3e9e377a, v10
	;; [unrolled: 1-line block ×4, first 2 shown]
	v_sub_f32_e32 v10, v248, v203
	v_sub_f32_e32 v16, v21, v252
	ds_write2_b64 v255, v[206:207], v[4:5] offset0:153 offset1:170
	v_sub_f32_e32 v4, v203, v248
	v_sub_f32_e32 v5, v252, v21
	;; [unrolled: 1-line block ×4, first 2 shown]
	v_add_f32_e32 v10, v10, v16
	v_sub_f32_e32 v16, v249, v214
	v_add_f32_e32 v13, v4, v5
	v_add_f32_e32 v4, v248, v21
	;; [unrolled: 1-line block ×3, first 2 shown]
	v_sub_f32_e32 v18, v202, v216
	v_add_f32_e32 v16, v16, v17
	v_sub_f32_e32 v17, v23, v217
	v_fma_f32 v4, -0.5, v4, v186
	v_fma_f32 v5, -0.5, v5, v187
	v_fmamk_f32 v194, v15, 0xbf737871, v4
	v_fmamk_f32 v195, v207, 0x3f737871, v5
	v_fmac_f32_e32 v4, 0x3f737871, v15
	v_fmac_f32_e32 v5, 0xbf737871, v207
	v_fmac_f32_e32 v194, 0x3f167918, v206
	v_fmac_f32_e32 v195, 0xbf167918, v208
	v_fmac_f32_e32 v4, 0xbf167918, v206
	v_fmac_f32_e32 v5, 0x3f167918, v208
	v_fmac_f32_e32 v194, 0x3e9e377a, v13
	v_fmac_f32_e32 v195, 0x3e9e377a, v14
	v_fmac_f32_e32 v4, 0x3e9e377a, v13
	v_add_f32_e32 v13, v215, v217
	v_fmac_f32_e32 v5, 0x3e9e377a, v14
	v_sub_f32_e32 v14, v217, v23
	ds_write2_b64 v1, v[200:201], v[194:195] offset0:33 offset1:50
	v_add_f32_e32 v195, v96, v23
	v_fma_f32 v194, -0.5, v13, v188
	v_sub_f32_e32 v13, v215, v96
	v_add_f32_e32 v200, v188, v96
	v_add_f32_e32 v201, v189, v202
	v_fma_f32 v188, -0.5, v195, v188
	v_add_f32_e32 v13, v13, v14
	v_add_f32_e32 v14, v216, v222
	v_fma_f32 v195, -0.5, v14, v189
	v_add_f32_e32 v14, v202, v218
	v_fmac_f32_e32 v189, -0.5, v14
	v_sub_f32_e32 v14, v216, v202
	v_fmamk_f32 v197, v213, 0x3f737871, v189
	v_add_f32_e32 v14, v14, v196
	v_fmamk_f32 v196, v209, 0xbf737871, v188
	v_fmac_f32_e32 v188, 0x3f737871, v209
	v_fmac_f32_e32 v189, 0xbf737871, v213
	;; [unrolled: 1-line block ×10, first 2 shown]
	ds_write2_b64 v1, v[4:5], v[188:189] offset0:169 offset1:186
	v_add_f32_e32 v4, v203, v252
	v_add_f32_e32 v5, v214, v253
	;; [unrolled: 1-line block ×4, first 2 shown]
	v_fma_f32 v4, -0.5, v4, v186
	v_fma_f32 v5, -0.5, v5, v187
	v_fmamk_f32 v186, v206, 0x3f737871, v4
	v_fmac_f32_e32 v4, 0xbf737871, v206
	v_fmamk_f32 v187, v208, 0xbf737871, v5
	v_fmac_f32_e32 v5, 0x3f737871, v208
	v_fmac_f32_e32 v186, 0x3f167918, v15
	;; [unrolled: 1-line block ×3, first 2 shown]
	v_sub_f32_e32 v15, v96, v215
	v_fmac_f32_e32 v5, 0x3f167918, v207
	v_fmac_f32_e32 v187, 0xbf167918, v207
	;; [unrolled: 1-line block ×4, first 2 shown]
	v_sub_f32_e32 v10, v191, v192
	v_fmac_f32_e32 v5, 0x3e9e377a, v16
	v_add_f32_e32 v15, v15, v17
	v_add_f32_e32 v17, v18, v19
	v_fmac_f32_e32 v187, 0x3e9e377a, v16
	ds_write2_b64 v3, v[6:7], v[4:5] offset0:15 offset1:32
	v_add_f32_e32 v4, v188, v203
	v_add_f32_e32 v5, v189, v214
	;; [unrolled: 1-line block ×4, first 2 shown]
	v_fmamk_f32 v200, v212, 0x3f737871, v194
	v_add_f32_e32 v4, v4, v252
	v_add_f32_e32 v5, v5, v253
	;; [unrolled: 1-line block ×4, first 2 shown]
	v_fmamk_f32 v201, v219, 0xbf737871, v195
	v_add_f32_e32 v4, v4, v21
	v_add_f32_e32 v5, v5, v22
	;; [unrolled: 1-line block ×4, first 2 shown]
	v_fmac_f32_e32 v194, 0xbf737871, v212
	v_fmac_f32_e32 v195, 0x3f737871, v219
	;; [unrolled: 1-line block ×4, first 2 shown]
	ds_write2_b64 v255, v[4:5], v[6:7] offset0:68 offset1:85
	v_sub_f32_e32 v6, v229, v190
	v_sub_f32_e32 v7, v226, v224
	v_fmamk_f32 v4, v244, 0x3f737871, v204
	v_fmamk_f32 v5, v245, 0xbf737871, v205
	v_fmac_f32_e32 v204, 0xbf737871, v244
	v_fmac_f32_e32 v205, 0x3f737871, v245
	v_add_f32_e32 v6, v6, v7
	v_add_f32_e32 v7, v8, v10
	;; [unrolled: 1-line block ×3, first 2 shown]
	v_fmac_f32_e32 v4, 0x3f167918, v242
	v_fmac_f32_e32 v5, 0xbf167918, v243
	;; [unrolled: 1-line block ×6, first 2 shown]
	v_add_f32_e32 v8, v8, v224
	v_fmac_f32_e32 v200, 0x3e9e377a, v15
	v_fmac_f32_e32 v201, 0x3e9e377a, v17
	;; [unrolled: 1-line block ×4, first 2 shown]
	v_add_nc_u32_e32 v188, 0x400, v255
	v_fmac_f32_e32 v194, 0x3e9e377a, v15
	v_fmac_f32_e32 v195, 0x3e9e377a, v17
	;; [unrolled: 1-line block ×4, first 2 shown]
	v_add_f32_e32 v6, v8, v226
	v_add_f32_e32 v7, v9, v191
	ds_write2_b64 v255, v[186:187], v[200:201] offset0:187 offset1:204
	ds_write2_b64 v188, v[4:5], v[198:199] offset0:93 offset1:144
	;; [unrolled: 1-line block ×4, first 2 shown]
	ds_write_b64 v255, v[6:7] offset:816
	v_lshlrev_b32_e32 v186, 3, v24
	s_waitcnt lgkmcnt(0)
	s_barrier
	buffer_gl0_inv
	s_clause 0x2
	global_load_dwordx2 v[96:97], v186, s[2:3]
	global_load_dwordx2 v[202:203], v186, s[2:3] offset:136
	global_load_dwordx2 v[204:205], v186, s[2:3] offset:1360
	v_add_co_u32 v4, s0, s2, v186
	v_add_co_ci_u32_e64 v5, null, s3, 0, s0
	global_load_dwordx2 v[206:207], v186, s[2:3] offset:1496
	v_add_co_u32 v208, s0, 0x800, v4
	v_add_co_ci_u32_e64 v209, s0, 0, v5, s0
	v_add_co_u32 v216, s0, 0x1000, v4
	v_add_co_ci_u32_e64 v217, s0, 0, v5, s0
	s_clause 0x5
	global_load_dwordx2 v[210:211], v[208:209], off offset:672
	global_load_dwordx2 v[212:213], v[208:209], off offset:808
	;; [unrolled: 1-line block ×4, first 2 shown]
	global_load_dwordx2 v[220:221], v186, s[2:3] offset:816
	global_load_dwordx2 v[222:223], v186, s[2:3] offset:952
	ds_read2_b64 v[4:7], v255 offset1:17
	ds_read2_b64 v[189:192], v255 offset0:170 offset1:187
	ds_read2_b64 v[194:197], v1 offset0:84 offset1:101
	;; [unrolled: 1-line block ×3, first 2 shown]
	buffer_load_dword v8, off, s[20:23], 0 offset:320 ; 4-byte Folded Reload
	global_load_dwordx2 v[224:225], v186, s[2:3] offset:272
	s_waitcnt vmcnt(1)
	s_clause 0x1
	global_load_dwordx2 v[226:227], v8, s[2:3]
	global_load_dwordx2 v[228:229], v186, s[2:3] offset:1224
	s_waitcnt lgkmcnt(3)
	v_mul_f32_e32 v8, v5, v97
	v_mul_f32_e32 v231, v4, v97
	;; [unrolled: 1-line block ×4, first 2 shown]
	s_waitcnt lgkmcnt(2)
	v_mul_f32_e32 v10, v190, v205
	v_fma_f32 v230, v4, v96, -v8
	v_mul_f32_e32 v203, v189, v205
	v_mul_f32_e32 v4, v192, v207
	v_fmac_f32_e32 v231, v5, v96
	v_fma_f32 v96, v6, v202, -v9
	v_fmac_f32_e32 v97, v7, v202
	v_mul_f32_e32 v205, v191, v207
	v_fma_f32 v202, v189, v204, -v10
	v_fmac_f32_e32 v203, v190, v204
	v_fma_f32 v204, v191, v206, -v4
	s_waitcnt lgkmcnt(1)
	v_mul_f32_e32 v4, v195, v211
	v_mul_f32_e32 v5, v197, v213
	s_clause 0x2
	global_load_dwordx2 v[232:233], v186, s[2:3] offset:1632
	global_load_dwordx2 v[234:235], v186, s[2:3] offset:1768
	global_load_dwordx2 v[236:237], v186, s[2:3] offset:1904
	v_fmac_f32_e32 v205, v192, v206
	s_waitcnt lgkmcnt(0)
	v_mul_f32_e32 v8, v199, v215
	v_fma_f32 v191, v194, v210, -v4
	v_fma_f32 v206, v196, v212, -v5
	ds_read2_b64 v[4:7], v255 offset0:102 offset1:119
	v_mul_f32_e32 v207, v196, v213
	v_fma_f32 v196, v198, v214, -v8
	v_mul_f32_e32 v8, v201, v219
	v_mul_f32_e32 v192, v194, v211
	global_load_dwordx2 v[189:190], v[208:209], off offset:944
	v_fmac_f32_e32 v207, v197, v212
	v_mul_f32_e32 v197, v198, v215
	v_fma_f32 v198, v200, v218, -v8
	v_fmac_f32_e32 v192, v195, v210
	s_clause 0x1
	global_load_dwordx2 v[194:195], v[208:209], off offset:1896
	global_load_dwordx2 v[238:239], v[208:209], off offset:536
	v_fmac_f32_e32 v197, v199, v214
	v_mul_f32_e32 v199, v200, v219
	s_clause 0x2
	global_load_dwordx2 v[210:211], v[216:217], off offset:392
	global_load_dwordx2 v[212:213], v[216:217], off offset:528
	global_load_dwordx2 v[216:217], v186, s[2:3] offset:1088
	v_fmac_f32_e32 v199, v201, v218
	global_load_dwordx2 v[200:201], v186, s[2:3] offset:680
	s_waitcnt lgkmcnt(0)
	v_mul_f32_e32 v8, v5, v221
	v_mul_f32_e32 v215, v4, v221
	;; [unrolled: 1-line block ×3, first 2 shown]
	v_fma_f32 v214, v4, v220, -v8
	v_mul_f32_e32 v4, v7, v223
	v_fmac_f32_e32 v215, v5, v220
	v_fmac_f32_e32 v219, v7, v222
	v_fma_f32 v218, v6, v222, -v4
	s_clause 0x3
	global_load_dwordx2 v[220:221], v[208:209], off offset:128
	global_load_dwordx2 v[222:223], v[208:209], off offset:264
	global_load_dwordx2 v[240:241], v[208:209], off offset:400
	global_load_dwordx2 v[242:243], v186, s[2:3] offset:2040
	ds_read2_b64 v[4:7], v1 offset0:16 offset1:33
	s_waitcnt vmcnt(3) lgkmcnt(0)
	v_mul_f32_e32 v8, v5, v221
	v_mul_f32_e32 v245, v4, v221
	s_waitcnt vmcnt(2)
	v_mul_f32_e32 v221, v6, v223
	v_fma_f32 v244, v4, v220, -v8
	v_mul_f32_e32 v4, v7, v223
	v_fmac_f32_e32 v245, v5, v220
	v_fmac_f32_e32 v221, v7, v222
	v_fma_f32 v220, v6, v222, -v4
	s_clause 0x1
	global_load_dwordx2 v[222:223], v[208:209], off offset:1488
	global_load_dwordx2 v[246:247], v[208:209], off offset:1352
	ds_read2_b64 v[4:7], v1 offset0:186 offset1:203
	s_waitcnt vmcnt(1) lgkmcnt(0)
	v_mul_f32_e32 v8, v5, v223
	v_mul_f32_e32 v249, v4, v223
	v_fma_f32 v248, v4, v222, -v8
	v_fmac_f32_e32 v249, v5, v222
	s_clause 0x1
	global_load_dwordx2 v[4:5], v[208:209], off offset:1624
	global_load_dwordx2 v[222:223], v[208:209], off offset:1760
	s_waitcnt vmcnt(1)
	v_mul_f32_e32 v8, v7, v5
	v_mul_f32_e32 v251, v6, v5
	v_fma_f32 v250, v6, v4, -v8
	v_fmac_f32_e32 v251, v7, v4
	ds_read2_b64 v[4:7], v255 offset0:34 offset1:51
	s_waitcnt lgkmcnt(0)
	v_mul_f32_e32 v8, v5, v225
	v_mul_f32_e32 v253, v4, v225
	v_fma_f32 v252, v4, v224, -v8
	v_fmac_f32_e32 v253, v5, v224
	s_clause 0x1
	global_load_dwordx2 v[4:5], v186, s[2:3] offset:408
	global_load_dwordx2 v[186:187], v186, s[2:3] offset:544
	s_waitcnt vmcnt(1)
	v_mul_f32_e32 v8, v7, v5
	v_mul_f32_e32 v225, v6, v5
	v_fma_f32 v224, v6, v4, -v8
	v_fmac_f32_e32 v225, v7, v4
	ds_read2_b64 v[4:7], v255 offset0:204 offset1:221
	s_waitcnt lgkmcnt(0)
	v_mul_f32_e32 v8, v5, v233
	v_mul_f32_e32 v9, v4, v233
	;; [unrolled: 1-line block ×3, first 2 shown]
	v_fma_f32 v8, v4, v232, -v8
	v_mul_f32_e32 v4, v7, v235
	v_fmac_f32_e32 v9, v5, v232
	v_fmac_f32_e32 v11, v7, v234
	v_fma_f32 v10, v6, v234, -v4
	ds_read2_b64 v[4:7], v1 offset0:118 offset1:135
	s_waitcnt lgkmcnt(0)
	v_mul_f32_e32 v12, v5, v190
	v_mul_f32_e32 v233, v4, v190
	v_fma_f32 v232, v4, v189, -v12
	v_fmac_f32_e32 v233, v5, v189
	s_clause 0x1
	global_load_dwordx2 v[4:5], v[208:209], off offset:1080
	global_load_dwordx2 v[189:190], v[208:209], off offset:1216
	s_waitcnt vmcnt(1)
	v_mul_f32_e32 v12, v7, v5
	v_mul_f32_e32 v209, v6, v5
	v_fma_f32 v208, v6, v4, -v12
	v_fmac_f32_e32 v209, v7, v4
	ds_read2_b64 v[4:7], v3 offset0:32 offset1:49
	s_waitcnt lgkmcnt(0)
	v_mul_f32_e32 v12, v5, v227
	v_mul_f32_e32 v235, v4, v227
	v_mul_f32_e32 v227, v6, v211
	v_fma_f32 v234, v4, v226, -v12
	v_mul_f32_e32 v4, v7, v211
	v_fmac_f32_e32 v235, v5, v226
	v_fmac_f32_e32 v227, v7, v210
	v_fma_f32 v226, v6, v210, -v4
	ds_read2_b64 v[4:7], v255 offset0:68 offset1:85
	s_waitcnt lgkmcnt(0)
	v_mul_f32_e32 v12, v7, v201
	v_mul_f32_e32 v211, v6, v201
	v_mul_f32_e32 v201, v4, v187
	v_fma_f32 v210, v6, v200, -v12
	v_mul_f32_e32 v6, v5, v187
	v_fmac_f32_e32 v211, v7, v200
	v_fmac_f32_e32 v201, v5, v186
	v_fma_f32 v200, v4, v186, -v6
	;; [unrolled: 10-line block ×5, first 2 shown]
	ds_read2_b64 v[4:7], v1 offset0:152 offset1:169
	s_waitcnt lgkmcnt(0)
	v_mul_f32_e32 v12, v7, v247
	v_mul_f32_e32 v239, v6, v247
	s_waitcnt vmcnt(0)
	v_mul_f32_e32 v247, v4, v190
	v_fma_f32 v238, v6, v246, -v12
	v_mul_f32_e32 v6, v5, v190
	v_fmac_f32_e32 v239, v7, v246
	v_fmac_f32_e32 v247, v5, v189
	v_fma_f32 v246, v4, v189, -v6
	ds_read2_b64 v[4:7], v1 offset0:220 offset1:237
	ds_write2_b64 v255, v[230:231], v[96:97] offset1:17
	ds_write2_b64 v255, v[202:203], v[204:205] offset0:170 offset1:187
	ds_write2_b64 v1, v[191:192], v[206:207] offset0:84 offset1:101
	;; [unrolled: 1-line block ×4, first 2 shown]
	s_waitcnt lgkmcnt(5)
	v_mul_f32_e32 v12, v5, v223
	v_mul_f32_e32 v190, v4, v223
	v_fma_f32 v189, v4, v222, -v12
	v_fmac_f32_e32 v190, v5, v222
	v_mul_f32_e32 v4, v7, v195
	v_mul_f32_e32 v5, v6, v195
	v_fma_f32 v4, v6, v194, -v4
	v_fmac_f32_e32 v5, v7, v194
	ds_read_b64 v[6:7], v255 offset:4624
	ds_write2_b64 v1, v[244:245], v[220:221] offset0:16 offset1:33
	ds_write2_b64 v1, v[248:249], v[250:251] offset0:186 offset1:203
	;; [unrolled: 1-line block ×8, first 2 shown]
	s_waitcnt lgkmcnt(8)
	v_mul_f32_e32 v8, v7, v213
	v_mul_f32_e32 v9, v6, v213
	v_fma_f32 v8, v6, v212, -v8
	v_fmac_f32_e32 v9, v7, v212
	ds_write2_b64 v255, v[242:243], v[228:229] offset0:238 offset1:255
	ds_write2_b64 v1, v[236:237], v[240:241] offset0:50 offset1:67
	;; [unrolled: 1-line block ×4, first 2 shown]
	ds_write_b64 v255, v[8:9] offset:4624
	s_waitcnt lgkmcnt(0)
	s_barrier
	buffer_gl0_inv
	ds_read2_b64 v[4:7], v255 offset0:170 offset1:187
	ds_read2_b64 v[195:198], v1 offset0:152 offset1:169
	;; [unrolled: 1-line block ×8, first 2 shown]
	s_waitcnt lgkmcnt(6)
	v_add_f32_e32 v11, v4, v197
	v_add_f32_e32 v12, v5, v198
	v_sub_f32_e32 v13, v4, v197
	v_sub_f32_e32 v14, v5, v198
	s_waitcnt lgkmcnt(5)
	v_add_f32_e32 v15, v6, v189
	v_add_f32_e32 v16, v7, v190
	v_sub_f32_e32 v17, v6, v189
	v_sub_f32_e32 v18, v7, v190
	s_waitcnt lgkmcnt(4)
	v_add_f32_e32 v19, v199, v191
	v_add_f32_e32 v20, v200, v192
	ds_read2_b64 v[4:7], v1 offset0:118 offset1:135
	v_sub_f32_e32 v21, v199, v191
	v_sub_f32_e32 v22, v200, v192
	ds_read2_b64 v[197:200], v1 offset0:50 offset1:67
	s_waitcnt lgkmcnt(5)
	v_add_f32_e32 v23, v201, v203
	v_add_f32_e32 v221, v202, v204
	v_sub_f32_e32 v222, v201, v203
	v_sub_f32_e32 v223, v202, v204
	s_waitcnt lgkmcnt(4)
	v_add_f32_e32 v190, v207, v205
	v_add_f32_e32 v97, v208, v206
	v_sub_f32_e32 v189, v207, v205
	v_sub_f32_e32 v96, v208, v206
	ds_read2_b64 v[201:204], v193 offset0:126 offset1:143
	ds_read2_b64 v[205:208], v255 offset0:68 offset1:85
	s_waitcnt lgkmcnt(4)
	v_add_f32_e32 v224, v209, v211
	v_add_f32_e32 v225, v210, v212
	v_sub_f32_e32 v226, v211, v209
	v_sub_f32_e32 v227, v212, v210
	ds_read2_b64 v[209:212], v255 offset1:17
	v_add_f32_e32 v228, v215, v213
	v_add_f32_e32 v229, v216, v214
	s_waitcnt lgkmcnt(4)
	v_add_f32_e32 v232, v217, v4
	v_sub_f32_e32 v234, v4, v217
	v_add_f32_e32 v233, v218, v5
	s_waitcnt lgkmcnt(3)
	v_add_f32_e32 v236, v197, v6
	v_add_f32_e32 v237, v198, v7
	v_sub_f32_e32 v238, v6, v197
	v_sub_f32_e32 v239, v7, v198
	v_add_f32_e32 v4, v199, v195
	v_add_f32_e32 v194, v200, v196
	v_sub_f32_e32 v192, v195, v199
	v_sub_f32_e32 v191, v196, v200
	ds_read2_b64 v[195:198], v255 offset0:102 offset1:119
	s_waitcnt lgkmcnt(2)
	v_add_f32_e32 v240, v207, v201
	v_sub_f32_e32 v235, v5, v218
	v_add_f32_e32 v241, v208, v202
	v_sub_f32_e32 v230, v213, v215
	v_sub_f32_e32 v231, v214, v216
	v_add_f32_e32 v5, v11, v240
	ds_read2_b64 v[213:216], v255 offset0:136 offset1:153
	v_add_f32_e32 v6, v12, v241
	ds_read_b64 v[186:187], v255 offset:4624
	v_sub_f32_e32 v201, v207, v201
	v_add_f32_e32 v242, v224, v5
	ds_read2_b64 v[217:220], v255 offset0:34 offset1:51
	v_add_f32_e32 v243, v225, v6
	v_sub_f32_e32 v202, v208, v202
	s_waitcnt lgkmcnt(4)
	v_add_f32_e32 v7, v209, v242
	v_add_f32_e32 v8, v210, v243
	s_waitcnt lgkmcnt(3)
	v_add_f32_e32 v244, v195, v203
	v_add_f32_e32 v246, v196, v204
	v_sub_f32_e32 v203, v195, v203
	v_sub_f32_e32 v195, v240, v224
	;; [unrolled: 1-line block ×3, first 2 shown]
	v_add_f32_e32 v5, v15, v244
	v_sub_f32_e32 v196, v241, v225
	s_waitcnt lgkmcnt(1)
	v_add_f32_e32 v26, v215, v186
	v_add_f32_e32 v245, v228, v5
	;; [unrolled: 1-line block ×3, first 2 shown]
	v_sub_f32_e32 v6, v215, v186
	v_sub_f32_e32 v193, v216, v187
	v_add_f32_e32 v186, v190, v26
	v_add_f32_e32 v9, v211, v245
	;; [unrolled: 1-line block ×3, first 2 shown]
	v_sub_f32_e32 v215, v202, v227
	v_add_f32_e32 v207, v4, v186
	v_add_f32_e32 v10, v212, v247
	ds_read2_b64 v[209:212], v3 offset0:32 offset1:49
	s_waitcnt lgkmcnt(0)
	s_barrier
	buffer_gl0_inv
	v_add_f32_e32 v248, v197, v209
	v_add_f32_e32 v250, v198, v210
	;; [unrolled: 1-line block ×4, first 2 shown]
	v_sub_f32_e32 v27, v213, v211
	v_add_f32_e32 v5, v19, v248
	v_sub_f32_e32 v211, v214, v212
	v_sub_f32_e32 v198, v198, v210
	;; [unrolled: 1-line block ×4, first 2 shown]
	v_add_f32_e32 v249, v232, v5
	v_add_f32_e32 v5, v20, v250
	v_sub_f32_e32 v197, v197, v209
	v_add_f32_e32 v209, v226, v13
	v_sub_f32_e32 v212, v201, v226
	v_add_f32_e32 v199, v217, v249
	v_add_f32_e32 v251, v233, v5
	;; [unrolled: 1-line block ×4, first 2 shown]
	v_mul_f32_e32 v210, 0x3f08b237, v210
	v_mul_f32_e32 v214, 0x3f08b237, v214
	v_add_f32_e32 v200, v218, v251
	v_add_f32_e32 v253, v236, v5
	;; [unrolled: 1-line block ×5, first 2 shown]
	v_fmamk_f32 v227, v215, 0xbeae86e6, v214
	v_add_f32_e32 v217, v219, v253
	v_add_f32_e32 v25, v237, v5
	;; [unrolled: 1-line block ×3, first 2 shown]
	v_mul_f32_e32 v216, 0x3f4a47b2, v195
	v_mul_f32_e32 v219, 0x3f4a47b2, v196
	v_fmac_f32_e32 v227, 0xbee1c552, v213
	v_add_f32_e32 v218, v220, v25
	v_add_f32_e32 v186, v97, v5
	v_fmamk_f32 v220, v242, 0xbf955555, v7
	v_fmamk_f32 v242, v212, 0xbeae86e6, v210
	;; [unrolled: 1-line block ×3, first 2 shown]
	v_add_f32_e32 v208, v194, v186
	v_add_f32_e32 v186, v205, v207
	v_sub_f32_e32 v205, v224, v11
	v_fmamk_f32 v224, v243, 0xbf955555, v8
	buffer_load_dword v243, off, s[20:23], 0 offset:328 ; 4-byte Folded Reload
	v_add_f32_e32 v187, v206, v208
	v_sub_f32_e32 v206, v225, v12
	v_fmamk_f32 v195, v205, 0x3d64c772, v216
	v_fmac_f32_e32 v242, 0xbee1c552, v209
	v_add_f32_e32 v225, v195, v220
	v_fmamk_f32 v195, v206, 0x3d64c772, v219
	v_add_f32_e32 v226, v195, v224
	v_add_f32_e32 v195, v225, v227
	v_sub_f32_e32 v196, v226, v242
	s_waitcnt vmcnt(0)
	ds_write2_b64 v243, v[7:8], v[195:196] offset1:1
	v_sub_f32_e32 v7, v11, v240
	v_sub_f32_e32 v11, v13, v201
	v_mul_f32_e32 v13, 0x3d64c772, v205
	v_sub_f32_e32 v8, v12, v241
	v_sub_f32_e32 v12, v14, v202
	v_mul_f32_e32 v14, 0x3d64c772, v206
	v_fma_f32 v201, 0xbf5ff5aa, v11, -v210
	v_fma_f32 v13, 0x3f3bfb3b, v7, -v13
	;; [unrolled: 1-line block ×3, first 2 shown]
	buffer_load_dword v216, off, s[20:23], 0 offset:324 ; 4-byte Folded Reload
	v_mul_f32_e32 v11, 0xbf5ff5aa, v11
	v_fma_f32 v202, 0xbf5ff5aa, v12, -v214
	v_mul_f32_e32 v12, 0xbf5ff5aa, v12
	v_fma_f32 v14, 0x3f3bfb3b, v8, -v14
	v_fma_f32 v8, 0xbf3bfb3b, v8, -v219
	;; [unrolled: 1-line block ×3, first 2 shown]
	v_add_f32_e32 v13, v13, v220
	v_fma_f32 v12, 0x3eae86e6, v215, -v12
	v_add_f32_e32 v205, v7, v220
	v_add_f32_e32 v14, v14, v224
	;; [unrolled: 1-line block ×3, first 2 shown]
	v_fmac_f32_e32 v202, 0xbee1c552, v213
	v_fmac_f32_e32 v12, 0xbee1c552, v213
	;; [unrolled: 1-line block ×4, first 2 shown]
	v_fmamk_f32 v209, v245, 0xbf955555, v9
	v_sub_f32_e32 v195, v13, v202
	v_add_f32_e32 v7, v12, v205
	v_sub_f32_e32 v8, v206, v11
	v_add_f32_e32 v196, v201, v14
	v_fmamk_f32 v210, v247, 0xbf955555, v10
	ds_write2_b64 v243, v[7:8], v[195:196] offset0:2 offset1:3
	v_add_f32_e32 v7, v202, v13
	v_sub_f32_e32 v8, v14, v201
	v_sub_f32_e32 v195, v205, v12
	v_add_f32_e32 v196, v11, v206
	v_sub_f32_e32 v11, v228, v15
	v_sub_f32_e32 v14, v230, v17
	;; [unrolled: 1-line block ×4, first 2 shown]
	ds_write2_b64 v243, v[7:8], v[195:196] offset0:4 offset1:5
	v_sub_f32_e32 v7, v225, v227
	v_add_f32_e32 v8, v242, v226
	v_add_f32_e32 v13, v230, v17
	v_sub_f32_e32 v195, v203, v230
	v_add_f32_e32 v196, v231, v18
	v_sub_f32_e32 v202, v204, v231
	ds_write_b64 v243, v[7:8] offset:48
	v_sub_f32_e32 v7, v244, v228
	v_sub_f32_e32 v8, v246, v229
	v_mul_f32_e32 v14, 0x3f08b237, v14
	v_mul_f32_e32 v201, 0x3f08b237, v201
	v_add_f32_e32 v13, v13, v203
	v_mul_f32_e32 v205, 0x3f4a47b2, v7
	v_mul_f32_e32 v206, 0x3f4a47b2, v8
	v_add_f32_e32 v196, v196, v204
	v_fmamk_f32 v214, v202, 0xbeae86e6, v201
	v_fmamk_f32 v215, v195, 0xbeae86e6, v14
	;; [unrolled: 1-line block ×3, first 2 shown]
	v_mul_f32_e32 v11, 0x3d64c772, v11
	v_fmac_f32_e32 v214, 0xbee1c552, v196
	v_fmac_f32_e32 v215, 0xbee1c552, v13
	v_add_f32_e32 v212, v7, v209
	v_fmamk_f32 v7, v12, 0x3d64c772, v206
	v_mul_f32_e32 v12, 0x3d64c772, v12
	v_add_f32_e32 v213, v7, v210
	v_add_f32_e32 v7, v212, v214
	v_sub_f32_e32 v8, v213, v215
	s_waitcnt vmcnt(0)
	ds_write2_b64 v216, v[9:10], v[7:8] offset1:1
	v_sub_f32_e32 v9, v17, v203
	v_sub_f32_e32 v10, v18, v204
	;; [unrolled: 1-line block ×4, first 2 shown]
	v_fma_f32 v14, 0xbf5ff5aa, v9, -v14
	v_mul_f32_e32 v9, 0xbf5ff5aa, v9
	v_fma_f32 v11, 0x3f3bfb3b, v7, -v11
	v_fma_f32 v7, 0xbf3bfb3b, v7, -v205
	;; [unrolled: 1-line block ×5, first 2 shown]
	v_mul_f32_e32 v9, 0xbf5ff5aa, v10
	v_fma_f32 v16, 0xbf5ff5aa, v10, -v201
	v_add_f32_e32 v11, v11, v209
	v_add_f32_e32 v18, v7, v209
	;; [unrolled: 1-line block ×3, first 2 shown]
	v_fma_f32 v17, 0x3eae86e6, v202, -v9
	v_add_f32_e32 v195, v8, v210
	v_fmac_f32_e32 v16, 0xbee1c552, v196
	v_fmac_f32_e32 v15, 0xbee1c552, v13
	;; [unrolled: 1-line block ×4, first 2 shown]
	v_add_f32_e32 v13, v234, v21
	v_sub_f32_e32 v9, v11, v16
	v_sub_f32_e32 v8, v195, v15
	v_add_f32_e32 v10, v14, v12
	v_add_f32_e32 v7, v17, v18
	v_fmamk_f32 v201, v251, 0xbf955555, v200
	v_add_f32_e32 v13, v13, v197
	ds_write2_b64 v216, v[7:8], v[9:10] offset0:2 offset1:3
	v_add_f32_e32 v7, v16, v11
	v_sub_f32_e32 v8, v12, v14
	v_sub_f32_e32 v9, v18, v17
	v_add_f32_e32 v10, v15, v195
	v_sub_f32_e32 v11, v250, v233
	v_sub_f32_e32 v12, v233, v20
	v_fmamk_f32 v195, v249, 0xbf955555, v199
	v_sub_f32_e32 v14, v234, v21
	ds_write2_b64 v216, v[7:8], v[9:10] offset0:4 offset1:5
	v_add_f32_e32 v8, v215, v213
	buffer_load_dword v213, off, s[20:23], 0 offset:316 ; 4-byte Folded Reload
	v_sub_f32_e32 v9, v248, v232
	v_sub_f32_e32 v10, v232, v19
	v_mul_f32_e32 v11, 0x3f4a47b2, v11
	v_sub_f32_e32 v17, v235, v22
	v_add_f32_e32 v16, v235, v22
	v_mul_f32_e32 v9, 0x3f4a47b2, v9
	v_sub_f32_e32 v20, v20, v250
	v_sub_f32_e32 v21, v21, v197
	;; [unrolled: 1-line block ×4, first 2 shown]
	v_fmamk_f32 v196, v10, 0x3d64c772, v9
	v_sub_f32_e32 v18, v198, v235
	v_mul_f32_e32 v14, 0x3f08b237, v14
	v_mul_f32_e32 v17, 0x3f08b237, v17
	v_sub_f32_e32 v19, v19, v248
	v_add_f32_e32 v202, v196, v195
	v_fmamk_f32 v196, v12, 0x3d64c772, v11
	v_mul_f32_e32 v12, 0x3d64c772, v12
	v_mul_f32_e32 v10, 0x3d64c772, v10
	v_fma_f32 v11, 0xbf3bfb3b, v20, -v11
	v_add_f32_e32 v16, v16, v198
	v_add_f32_e32 v205, v196, v201
	v_fma_f32 v12, 0x3f3bfb3b, v20, -v12
	v_mul_f32_e32 v196, 0xbf5ff5aa, v21
	v_mul_f32_e32 v20, 0xbf5ff5aa, v22
	v_fmamk_f32 v203, v18, 0xbeae86e6, v17
	v_fmamk_f32 v204, v15, 0xbeae86e6, v14
	v_fma_f32 v10, 0x3f3bfb3b, v19, -v10
	v_fma_f32 v19, 0xbf3bfb3b, v19, -v9
	;; [unrolled: 1-line block ×6, first 2 shown]
	v_fmac_f32_e32 v203, 0xbee1c552, v16
	v_fmac_f32_e32 v204, 0xbee1c552, v13
	v_add_f32_e32 v20, v10, v195
	v_add_f32_e32 v19, v19, v195
	;; [unrolled: 1-line block ×4, first 2 shown]
	v_fmac_f32_e32 v18, 0xbee1c552, v16
	v_fmac_f32_e32 v15, 0xbee1c552, v13
	;; [unrolled: 1-line block ×4, first 2 shown]
	v_sub_f32_e32 v7, v212, v214
	v_add_f32_e32 v9, v202, v203
	v_sub_f32_e32 v10, v205, v204
	v_add_f32_e32 v195, v18, v19
	v_sub_f32_e32 v196, v11, v15
	v_sub_f32_e32 v197, v20, v17
	v_add_f32_e32 v198, v14, v12
	ds_write_b64 v216, v[7:8] offset:48
	v_add_f32_e32 v7, v17, v20
	v_sub_f32_e32 v8, v12, v14
	v_sub_f32_e32 v13, v24, v237
	;; [unrolled: 1-line block ×6, first 2 shown]
	v_mul_f32_e32 v13, 0x3f4a47b2, v13
	v_sub_f32_e32 v20, v211, v239
	v_sub_f32_e32 v23, v23, v252
	v_mul_f32_e32 v16, 0x3f08b237, v16
	v_sub_f32_e32 v24, v221, v24
	v_fmamk_f32 v21, v253, 0xbf955555, v217
	s_waitcnt vmcnt(0)
	ds_write2_b64 v213, v[199:200], v[9:10] offset1:1
	ds_write2_b64 v213, v[195:196], v[197:198] offset0:2 offset1:3
	v_sub_f32_e32 v9, v19, v18
	v_add_f32_e32 v10, v15, v11
	v_sub_f32_e32 v195, v202, v203
	v_add_f32_e32 v196, v204, v205
	ds_write2_b64 v213, v[7:8], v[9:10] offset0:4 offset1:5
	ds_write_b64 v213, v[195:196] offset:48
	buffer_load_dword v195, off, s[20:23], 0 offset:312 ; 4-byte Folded Reload
	v_sub_f32_e32 v11, v252, v236
	v_add_f32_e32 v15, v238, v222
	v_sub_f32_e32 v19, v239, v223
	v_sub_f32_e32 v198, v223, v211
	v_add_f32_e32 v18, v239, v223
	v_mul_f32_e32 v11, 0x3f4a47b2, v11
	v_add_f32_e32 v15, v15, v27
	v_mul_f32_e32 v19, 0x3f08b237, v19
	v_fmamk_f32 v197, v14, 0x3d64c772, v13
	v_sub_f32_e32 v27, v222, v27
	v_fmamk_f32 v22, v12, 0x3d64c772, v11
	v_mul_f32_e32 v12, 0x3d64c772, v12
	v_mul_f32_e32 v14, 0x3d64c772, v14
	;; [unrolled: 1-line block ×3, first 2 shown]
	v_add_f32_e32 v18, v18, v211
	v_fmamk_f32 v209, v20, 0xbeae86e6, v19
	v_fmamk_f32 v210, v17, 0xbeae86e6, v16
	v_fma_f32 v12, 0x3f3bfb3b, v23, -v12
	v_fma_f32 v11, 0xbf3bfb3b, v23, -v11
	v_mul_f32_e32 v23, 0xbf5ff5aa, v27
	v_fma_f32 v14, 0x3f3bfb3b, v24, -v14
	v_fma_f32 v16, 0xbf5ff5aa, v27, -v16
	;; [unrolled: 1-line block ×6, first 2 shown]
	v_add_f32_e32 v12, v12, v21
	v_add_f32_e32 v11, v11, v21
	;; [unrolled: 1-line block ×3, first 2 shown]
	v_fmac_f32_e32 v20, 0xbee1c552, v18
	v_fmac_f32_e32 v19, 0xbee1c552, v18
	;; [unrolled: 1-line block ×3, first 2 shown]
	v_sub_f32_e32 v7, v26, v4
	v_sub_f32_e32 v9, v4, v190
	;; [unrolled: 1-line block ×3, first 2 shown]
	v_add_f32_e32 v13, v13, v25
	v_fmac_f32_e32 v17, 0xbee1c552, v15
	v_add_f32_e32 v199, v20, v11
	v_sub_f32_e32 v201, v12, v19
	v_add_f32_e32 v202, v16, v14
	v_add_f32_e32 v203, v19, v12
	v_sub_f32_e32 v204, v14, v16
	v_sub_f32_e32 v205, v11, v20
	;; [unrolled: 1-line block ×3, first 2 shown]
	v_add_f32_e32 v8, v192, v189
	v_sub_f32_e32 v11, v192, v189
	v_mul_f32_e32 v16, 0x3f4a47b2, v7
	v_mul_f32_e32 v19, 0x3f4a47b2, v4
	v_add_f32_e32 v212, v197, v25
	v_sub_f32_e32 v200, v13, v17
	v_add_f32_e32 v206, v17, v13
	v_sub_f32_e32 v12, v6, v192
	v_sub_f32_e32 v14, v191, v96
	v_add_f32_e32 v17, v8, v6
	v_fmamk_f32 v7, v9, 0x3d64c772, v16
	v_mul_f32_e32 v11, 0x3f08b237, v11
	v_fmamk_f32 v4, v10, 0x3d64c772, v19
	v_sub_f32_e32 v25, v190, v26
	v_mul_f32_e32 v9, 0x3d64c772, v9
	v_sub_f32_e32 v5, v97, v5
	v_sub_f32_e32 v6, v189, v6
	v_mul_f32_e32 v10, 0x3d64c772, v10
	v_sub_f32_e32 v26, v96, v193
	v_add_f32_e32 v22, v22, v21
	v_fmac_f32_e32 v209, 0xbee1c552, v18
	v_fmac_f32_e32 v210, 0xbee1c552, v15
	v_sub_f32_e32 v15, v193, v191
	v_mul_f32_e32 v14, 0x3f08b237, v14
	v_fmamk_f32 v18, v207, 0xbf955555, v186
	v_fmamk_f32 v21, v208, 0xbf955555, v187
	v_fma_f32 v9, 0x3f3bfb3b, v25, -v9
	v_fma_f32 v16, 0xbf3bfb3b, v25, -v16
	v_mul_f32_e32 v25, 0xbf5ff5aa, v6
	v_fma_f32 v10, 0x3f3bfb3b, v5, -v10
	v_mul_f32_e32 v27, 0xbf5ff5aa, v26
	v_fma_f32 v6, 0xbf5ff5aa, v6, -v11
	v_add_f32_e32 v197, v22, v209
	v_sub_f32_e32 v198, v212, v210
	v_fmamk_f32 v20, v15, 0xbeae86e6, v14
	v_add_f32_e32 v23, v7, v18
	v_fmamk_f32 v24, v12, 0xbeae86e6, v11
	v_fma_f32 v11, 0x3eae86e6, v12, -v25
	v_fma_f32 v12, 0xbf5ff5aa, v26, -v14
	v_fma_f32 v14, 0x3eae86e6, v15, -v27
	v_add_f32_e32 v15, v9, v18
	v_add_f32_e32 v16, v16, v18
	;; [unrolled: 1-line block ×3, first 2 shown]
	v_fmac_f32_e32 v6, 0xbee1c552, v17
	v_add_f32_e32 v13, v191, v96
	v_fma_f32 v5, 0xbf3bfb3b, v5, -v19
	v_sub_f32_e32 v7, v22, v209
	v_add_f32_e32 v22, v4, v21
	v_add_f32_e32 v190, v6, v18
	v_sub_f32_e32 v192, v18, v6
	v_add_f32_e32 v13, v13, v193
	v_fmac_f32_e32 v24, 0xbee1c552, v17
	v_add_f32_e32 v19, v5, v21
	v_fmac_f32_e32 v11, 0xbee1c552, v17
	;; [unrolled: 2-line block ×3, first 2 shown]
	v_fmac_f32_e32 v14, 0xbee1c552, v13
	v_fmac_f32_e32 v12, 0xbee1c552, v13
	v_sub_f32_e32 v5, v22, v24
	v_sub_f32_e32 v10, v19, v11
	v_add_f32_e32 v4, v23, v20
	v_add_f32_e32 v9, v14, v16
	v_sub_f32_e32 v189, v15, v12
	v_add_f32_e32 v191, v12, v15
	v_sub_f32_e32 v193, v16, v14
	;; [unrolled: 2-line block ×3, first 2 shown]
	v_add_f32_e32 v97, v24, v22
	s_waitcnt vmcnt(0)
	ds_write2_b64 v195, v[217:218], v[197:198] offset1:1
	ds_write2_b64 v195, v[199:200], v[201:202] offset0:2 offset1:3
	ds_write2_b64 v195, v[203:204], v[205:206] offset0:4 offset1:5
	buffer_load_dword v6, off, s[20:23], 0 offset:308 ; 4-byte Folded Reload
	ds_write_b64 v195, v[7:8] offset:48
	s_waitcnt vmcnt(0)
	ds_write2_b64 v6, v[186:187], v[4:5] offset1:1
	ds_write2_b64 v6, v[9:10], v[189:190] offset0:2 offset1:3
	ds_write2_b64 v6, v[191:192], v[193:194] offset0:4 offset1:5
	ds_write_b64 v6, v[96:97] offset:48
	s_waitcnt lgkmcnt(0)
	s_barrier
	buffer_gl0_inv
	ds_read2_b64 v[226:229], v188 offset0:117 offset1:134
	ds_read2_b64 v[222:225], v1 offset0:24 offset1:41
	;; [unrolled: 1-line block ×10, first 2 shown]
	ds_read2_b64 v[186:189], v255 offset1:17
	ds_read2_b64 v[250:253], v255 offset0:35 offset1:52
	ds_read2_b64 v[246:249], v255 offset0:70 offset1:87
	;; [unrolled: 1-line block ×6, first 2 shown]
	s_and_saveexec_b32 s0, vcc_lo
	s_cbranch_execz .LBB0_7
; %bb.6:
	buffer_load_dword v4, off, s[20:23], 0 offset:4 ; 4-byte Folded Reload
	ds_read_b64 v[96:97], v255 offset:272
	s_waitcnt vmcnt(0)
	v_add_nc_u32_e32 v1, 0x800, v4
	v_add_nc_u32_e32 v3, 0xc00, v4
	ds_read2_b64 v[98:101], v4 offset0:69 offset1:104
	ds_read2_b64 v[106:109], v4 offset0:139 offset1:174
	;; [unrolled: 1-line block ×3, first 2 shown]
	v_add_nc_u32_e32 v4, 0x1000, v4
	ds_read2_b64 v[150:153], v1 offset0:23 offset1:58
	ds_read2_b64 v[154:157], v1 offset0:93 offset1:128
	;; [unrolled: 1-line block ×5, first 2 shown]
.LBB0_7:
	s_or_b32 exec_lo, exec_lo, s0
	s_waitcnt lgkmcnt(5)
	v_mul_f32_e32 v1, v89, v250
	v_mul_f32_e32 v5, v89, v251
	s_waitcnt lgkmcnt(4)
	v_mul_f32_e32 v4, v91, v247
	s_waitcnt lgkmcnt(0)
	v_mul_f32_e32 v3, v71, v230
	v_mul_f32_e32 v16, v37, v220
	v_fma_f32 v6, v88, v251, -v1
	v_mul_f32_e32 v1, v91, v246
	v_fmac_f32_e32 v5, v88, v250
	v_fmac_f32_e32 v4, v90, v246
	v_mul_f32_e32 v250, v49, v253
	v_mul_f32_e32 v246, v51, v249
	v_fma_f32 v7, v90, v247, -v1
	v_mul_f32_e32 v1, v49, v252
	v_add_f32_e32 v13, v187, v6
	v_fmac_f32_e32 v250, v48, v252
	v_fmac_f32_e32 v246, v50, v248
	v_mul_f32_e32 v252, v73, v243
	v_fma_f32 v251, v48, v253, -v1
	v_mul_f32_e32 v1, v51, v248
	v_mul_f32_e32 v248, v75, v239
	v_add_f32_e32 v12, v186, v5
	v_add_f32_e32 v13, v13, v7
	v_fmac_f32_e32 v252, v72, v242
	v_fma_f32 v247, v50, v249, -v1
	v_mul_f32_e32 v1, v73, v242
	v_fmac_f32_e32 v248, v74, v238
	v_add_f32_e32 v12, v12, v4
	v_mul_f32_e32 v242, v53, v245
	v_mul_f32_e32 v90, v45, v237
	v_fma_f32 v253, v72, v243, -v1
	v_mul_f32_e32 v1, v75, v238
	v_mul_f32_e32 v238, v55, v241
	v_add_f32_e32 v12, v12, v252
	v_fmac_f32_e32 v242, v52, v244
	v_add_f32_e32 v13, v13, v253
	v_fma_f32 v249, v74, v239, -v1
	v_mul_f32_e32 v1, v53, v244
	v_fmac_f32_e32 v238, v54, v240
	v_fma_f32 v53, v70, v231, -v3
	v_mul_f32_e32 v3, v47, v232
	v_add_f32_e32 v13, v13, v249
	v_fma_f32 v243, v52, v245, -v1
	v_mul_f32_e32 v1, v55, v240
	v_mul_f32_e32 v240, v69, v235
	;; [unrolled: 1-line block ×3, first 2 shown]
	v_add_f32_e32 v12, v12, v248
	v_mul_f32_e32 v88, v47, v233
	v_fma_f32 v239, v54, v241, -v1
	v_mul_f32_e32 v1, v69, v234
	v_fmac_f32_e32 v240, v68, v234
	v_fmac_f32_e32 v52, v70, v230
	v_mul_f32_e32 v48, v65, v227
	v_fma_f32 v89, v46, v233, -v3
	v_fma_f32 v234, v68, v235, -v1
	v_mul_f32_e32 v1, v45, v236
	v_mul_f32_e32 v3, v67, v222
	v_add_f32_e32 v12, v12, v240
	v_fmac_f32_e32 v90, v44, v236
	v_add_f32_e32 v13, v13, v234
	v_fma_f32 v91, v44, v237, -v1
	v_mul_f32_e32 v1, v65, v226
	v_fmac_f32_e32 v88, v46, v232
	v_mul_f32_e32 v44, v67, v223
	v_add_f32_e32 v13, v13, v53
	v_fmac_f32_e32 v48, v64, v226
	v_fma_f32 v49, v64, v227, -v1
	v_mul_f32_e32 v1, v77, v218
	v_fma_f32 v46, v66, v223, -v3
	v_add_f32_e32 v12, v12, v52
	v_mul_f32_e32 v45, v77, v219
	v_add_f32_e32 v13, v13, v49
	v_fmac_f32_e32 v44, v66, v222
	v_mul_f32_e32 v3, v79, v214
	v_fma_f32 v47, v76, v219, -v1
	v_add_f32_e32 v12, v12, v48
	v_add_f32_e32 v13, v13, v46
	v_mul_f32_e32 v50, v79, v215
	v_fmac_f32_e32 v45, v76, v218
	v_mul_f32_e32 v1, v93, v210
	v_fma_f32 v51, v78, v215, -v3
	v_mul_f32_e32 v3, v95, v206
	v_add_f32_e32 v12, v12, v44
	v_add_f32_e32 v13, v13, v47
	v_fmac_f32_e32 v50, v78, v214
	v_mul_f32_e32 v54, v93, v211
	v_fma_f32 v55, v92, v211, -v1
	v_fma_f32 v65, v94, v207, -v3
	v_mul_f32_e32 v3, v33, v228
	v_fma_f32 v74, v36, v221, -v16
	v_mul_f32_e32 v16, v39, v216
	v_add_f32_e32 v12, v12, v45
	v_add_f32_e32 v13, v13, v51
	v_mul_f32_e32 v64, v95, v207
	v_fmac_f32_e32 v54, v92, v210
	v_mul_f32_e32 v1, v35, v225
	v_fma_f32 v76, v32, v229, -v3
	v_mul_f32_e32 v3, v35, v224
	v_mul_f32_e32 v8, v81, v202
	;; [unrolled: 1-line block ×4, first 2 shown]
	v_fma_f32 v78, v38, v217, -v16
	v_mul_f32_e32 v16, v43, v208
	v_add_f32_e32 v12, v12, v50
	v_add_f32_e32 v13, v13, v55
	v_fmac_f32_e32 v64, v94, v206
	v_mul_f32_e32 v35, v81, v203
	v_fmac_f32_e32 v1, v34, v224
	v_fma_f32 v3, v34, v225, -v3
	v_mul_f32_e32 v11, v85, v195
	v_fma_f32 v34, v80, v203, -v8
	v_fmac_f32_e32 v9, v82, v198
	v_mul_f32_e32 v8, v85, v194
	v_fma_f32 v10, v82, v199, -v10
	v_mul_f32_e32 v15, v87, v190
	v_fma_f32 v82, v42, v209, -v16
	v_mul_f32_e32 v16, v61, v204
	v_add_f32_e32 v12, v12, v54
	v_add_f32_e32 v13, v13, v65
	v_fmac_f32_e32 v35, v80, v202
	v_fmac_f32_e32 v11, v84, v194
	v_mul_f32_e32 v14, v87, v191
	v_fma_f32 v8, v84, v195, -v8
	v_fma_f32 v15, v86, v191, -v15
	v_mul_f32_e32 v17, v41, v212
	v_fma_f32 v84, v60, v205, -v16
	v_mul_f32_e32 v16, v57, v196
	v_add_f32_e32 v12, v12, v64
	v_add_f32_e32 v13, v13, v34
	v_fmac_f32_e32 v14, v86, v190
	v_fma_f32 v80, v40, v213, -v17
	v_mul_f32_e32 v17, v63, v200
	v_fma_f32 v92, v56, v197, -v16
	v_add_f32_e32 v12, v12, v35
	v_sub_f32_e32 v16, v6, v15
	v_add_f32_e32 v13, v13, v10
	v_add_f32_e32 v6, v6, v15
	v_mul_f32_e32 v73, v37, v221
	v_mul_f32_e32 v83, v61, v205
	v_fma_f32 v86, v62, v201, -v17
	v_mul_f32_e32 v87, v57, v197
	v_mul_f32_e32 v17, v59, v192
	v_add_f32_e32 v12, v12, v9
	v_add_f32_e32 v18, v5, v14
	v_mul_f32_e32 v19, 0xbeb8f4ab, v16
	v_add_f32_e32 v13, v13, v8
	v_sub_f32_e32 v5, v5, v14
	v_mul_f32_e32 v21, 0x3f6eb680, v6
	v_mul_f32_e32 v75, v33, v229
	;; [unrolled: 1-line block ×3, first 2 shown]
	v_fmac_f32_e32 v73, v36, v220
	v_mul_f32_e32 v81, v43, v209
	v_fmac_f32_e32 v83, v60, v204
	v_mul_f32_e32 v66, v59, v193
	v_fmac_f32_e32 v87, v56, v196
	v_add_f32_e32 v12, v12, v11
	v_fmamk_f32 v20, v18, 0x3f6eb680, v19
	v_fma_f32 v67, v58, v193, -v17
	v_add_f32_e32 v33, v13, v15
	v_fmamk_f32 v13, v5, 0x3eb8f4ab, v21
	v_fmac_f32_e32 v21, 0xbeb8f4ab, v5
	v_mul_f32_e32 v17, 0x3f3d2fb0, v6
	v_mul_f32_e32 v24, 0x3ee437d1, v6
	;; [unrolled: 1-line block ×7, first 2 shown]
	v_sub_f32_e32 v68, v7, v8
	v_add_f32_e32 v7, v7, v8
	v_fmac_f32_e32 v75, v32, v228
	v_fmac_f32_e32 v77, v38, v216
	v_mul_f32_e32 v79, v41, v213
	v_fmac_f32_e32 v81, v42, v208
	v_mul_f32_e32 v85, v63, v201
	v_fmac_f32_e32 v66, v58, v192
	v_add_f32_e32 v32, v12, v14
	v_add_f32_e32 v12, v186, v20
	v_mul_f32_e32 v14, 0xbf2c7751, v16
	v_fma_f32 v15, 0x3f6eb680, v18, -v19
	v_add_f32_e32 v20, v187, v21
	v_fmamk_f32 v21, v5, 0x3f2c7751, v17
	v_mul_f32_e32 v22, 0xbf65296c, v16
	v_fmac_f32_e32 v17, 0xbf2c7751, v5
	v_mul_f32_e32 v25, 0xbf7ee86f, v16
	v_fmamk_f32 v26, v5, 0x3f65296c, v24
	v_fmac_f32_e32 v24, 0xbf65296c, v5
	v_fmamk_f32 v37, v5, 0x3f7ee86f, v36
	v_mul_f32_e32 v38, 0xbf763a35, v16
	v_fmac_f32_e32 v36, 0xbf7ee86f, v5
	v_fmamk_f32 v41, v5, 0x3f763a35, v39
	v_mul_f32_e32 v42, 0xbf4c4adb, v16
	v_fmac_f32_e32 v39, 0xbf763a35, v5
	v_mul_f32_e32 v57, 0xbf06c442, v16
	v_fmamk_f32 v58, v5, 0x3f4c4adb, v56
	v_fmac_f32_e32 v56, 0xbf4c4adb, v5
	v_fmamk_f32 v61, v5, 0x3f06c442, v60
	v_mul_f32_e32 v16, 0xbe3c28d5, v16
	v_fmac_f32_e32 v60, 0xbf06c442, v5
	v_fmamk_f32 v63, v5, 0x3e3c28d5, v6
	v_add_f32_e32 v69, v4, v11
	v_mul_f32_e32 v8, 0xbf2c7751, v68
	v_fmac_f32_e32 v6, 0xbe3c28d5, v5
	v_sub_f32_e32 v4, v4, v11
	v_mul_f32_e32 v5, 0x3f3d2fb0, v7
	v_fmac_f32_e32 v79, v40, v212
	v_fmac_f32_e32 v85, v62, v200
	v_add_f32_e32 v13, v187, v13
	v_fmamk_f32 v19, v18, 0x3f3d2fb0, v14
	v_add_f32_e32 v15, v186, v15
	v_fma_f32 v14, 0x3f3d2fb0, v18, -v14
	v_fmamk_f32 v23, v18, 0x3ee437d1, v22
	v_fma_f32 v22, 0x3ee437d1, v18, -v22
	v_fmamk_f32 v27, v18, 0x3dbcf732, v25
	;; [unrolled: 2-line block ×7, first 2 shown]
	v_mul_f32_e32 v18, 0xbf7ee86f, v68
	v_fmamk_f32 v93, v4, 0x3f2c7751, v5
	v_fma_f32 v8, 0x3f3d2fb0, v69, -v8
	v_fmac_f32_e32 v5, 0xbf2c7751, v4
	v_add_f32_e32 v19, v186, v19
	v_add_f32_e32 v14, v186, v14
	;; [unrolled: 1-line block ×3, first 2 shown]
	v_fmamk_f32 v12, v69, 0x3dbcf732, v18
	v_add_f32_e32 v13, v93, v13
	v_mul_f32_e32 v93, 0x3dbcf732, v7
	v_add_f32_e32 v8, v8, v15
	v_add_f32_e32 v5, v5, v20
	v_mul_f32_e32 v15, 0xbf4c4adb, v68
	v_fma_f32 v18, 0x3dbcf732, v69, -v18
	v_mul_f32_e32 v20, 0xbf1a4643, v7
	v_add_f32_e32 v21, v187, v21
	v_add_f32_e32 v23, v186, v23
	;; [unrolled: 1-line block ×4, first 2 shown]
	v_fmamk_f32 v19, v4, 0x3f7ee86f, v93
	v_fmamk_f32 v94, v69, 0xbf1a4643, v15
	v_add_f32_e32 v14, v18, v14
	v_fmamk_f32 v18, v4, 0x3f4c4adb, v20
	v_add_f32_e32 v17, v187, v17
	v_add_f32_e32 v22, v186, v22
	;; [unrolled: 1-line block ×3, first 2 shown]
	v_fmac_f32_e32 v93, 0xbf7ee86f, v4
	v_add_f32_e32 v19, v19, v21
	v_add_f32_e32 v21, v94, v23
	v_mul_f32_e32 v23, 0xbe3c28d5, v68
	v_fma_f32 v15, 0xbf1a4643, v69, -v15
	v_fmac_f32_e32 v20, 0xbf4c4adb, v4
	v_add_f32_e32 v18, v18, v26
	v_mul_f32_e32 v26, 0xbf7ba420, v7
	v_add_f32_e32 v27, v186, v27
	v_add_f32_e32 v37, v187, v37
	;; [unrolled: 1-line block ×3, first 2 shown]
	v_fmamk_f32 v93, v69, 0xbf7ba420, v23
	v_add_f32_e32 v15, v15, v22
	v_add_f32_e32 v20, v20, v24
	v_mul_f32_e32 v22, 0x3f06c442, v68
	v_fmamk_f32 v24, v4, 0x3e3c28d5, v26
	v_add_f32_e32 v25, v186, v25
	v_add_f32_e32 v36, v187, v36
	;; [unrolled: 1-line block ×4, first 2 shown]
	v_fma_f32 v23, 0xbf7ba420, v69, -v23
	v_fmac_f32_e32 v26, 0xbe3c28d5, v4
	v_fmamk_f32 v93, v69, 0xbf59a7d5, v22
	v_add_f32_e32 v24, v24, v37
	v_mul_f32_e32 v37, 0xbf59a7d5, v7
	v_add_f32_e32 v41, v187, v41
	v_add_f32_e32 v38, v186, v38
	;; [unrolled: 1-line block ×5, first 2 shown]
	v_mul_f32_e32 v36, 0x3f763a35, v68
	v_fmamk_f32 v40, v4, 0xbf06c442, v37
	v_fma_f32 v22, 0xbf59a7d5, v69, -v22
	v_mul_f32_e32 v93, 0xbe8c1d8e, v7
	v_add_f32_e32 v58, v187, v58
	v_add_f32_e32 v42, v186, v42
	;; [unrolled: 1-line block ×3, first 2 shown]
	v_fmamk_f32 v94, v69, 0xbe8c1d8e, v36
	v_add_f32_e32 v40, v40, v41
	v_add_f32_e32 v22, v22, v38
	v_fmamk_f32 v38, v4, 0xbf763a35, v93
	v_mul_f32_e32 v41, 0x3f65296c, v68
	v_fma_f32 v36, 0xbe8c1d8e, v69, -v36
	v_fmac_f32_e32 v93, 0x3f763a35, v4
	v_add_f32_e32 v39, v187, v39
	v_add_f32_e32 v43, v186, v43
	;; [unrolled: 1-line block ×3, first 2 shown]
	v_fmac_f32_e32 v37, 0x3f06c442, v4
	v_add_f32_e32 v38, v38, v58
	v_fmamk_f32 v58, v69, 0x3ee437d1, v41
	v_add_f32_e32 v36, v36, v42
	v_add_f32_e32 v42, v93, v56
	v_mul_f32_e32 v56, 0x3eb8f4ab, v68
	v_add_f32_e32 v57, v186, v57
	v_add_f32_e32 v62, v186, v62
	;; [unrolled: 1-line block ×4, first 2 shown]
	v_mul_f32_e32 v43, 0x3ee437d1, v7
	v_add_f32_e32 v58, v58, v59
	v_fma_f32 v41, 0x3ee437d1, v69, -v41
	v_fmamk_f32 v59, v69, 0x3f6eb680, v56
	v_add_f32_e32 v61, v187, v61
	v_add_f32_e32 v60, v187, v60
	v_fmamk_f32 v68, v4, 0xbf65296c, v43
	v_fmac_f32_e32 v43, 0x3f65296c, v4
	v_mul_f32_e32 v7, 0x3f6eb680, v7
	v_add_f32_e32 v41, v41, v57
	v_add_f32_e32 v57, v59, v62
	v_sub_f32_e32 v59, v253, v10
	v_add_f32_e32 v10, v253, v10
	v_add_f32_e32 v63, v187, v63
	v_add_f32_e32 v16, v186, v16
	v_add_f32_e32 v6, v187, v6
	v_add_f32_e32 v61, v68, v61
	v_add_f32_e32 v43, v43, v60
	v_fmamk_f32 v60, v4, 0xbeb8f4ab, v7
	v_fma_f32 v56, 0x3f6eb680, v69, -v56
	v_add_f32_e32 v62, v252, v9
	v_mul_f32_e32 v68, 0xbf65296c, v59
	v_fmac_f32_e32 v7, 0x3eb8f4ab, v4
	v_sub_f32_e32 v4, v252, v9
	v_mul_f32_e32 v9, 0x3ee437d1, v10
	v_add_f32_e32 v60, v60, v63
	v_fmamk_f32 v63, v62, 0x3ee437d1, v68
	v_add_f32_e32 v16, v56, v16
	v_add_f32_e32 v6, v7, v6
	v_fmamk_f32 v7, v4, 0x3f65296c, v9
	v_mul_f32_e32 v56, 0xbf4c4adb, v59
	v_fmac_f32_e32 v9, 0xbf65296c, v4
	v_add_f32_e32 v11, v63, v11
	v_fma_f32 v63, 0x3ee437d1, v62, -v68
	v_add_f32_e32 v7, v7, v13
	v_fmamk_f32 v13, v62, 0xbf1a4643, v56
	v_mul_f32_e32 v68, 0xbf1a4643, v10
	v_add_f32_e32 v5, v9, v5
	v_mul_f32_e32 v9, 0x3e3c28d5, v59
	v_add_f32_e32 v8, v63, v8
	v_add_f32_e32 v12, v13, v12
	v_fmamk_f32 v13, v4, 0x3f4c4adb, v68
	v_fma_f32 v56, 0xbf1a4643, v62, -v56
	v_fmamk_f32 v63, v62, 0xbf7ba420, v9
	v_mul_f32_e32 v69, 0xbf7ba420, v10
	v_fmac_f32_e32 v68, 0xbf4c4adb, v4
	v_add_f32_e32 v13, v13, v19
	v_add_f32_e32 v14, v56, v14
	;; [unrolled: 1-line block ×3, first 2 shown]
	v_fmamk_f32 v21, v4, 0xbe3c28d5, v69
	v_mul_f32_e32 v56, 0x3f763a35, v59
	v_fma_f32 v9, 0xbf7ba420, v62, -v9
	v_fmac_f32_e32 v69, 0x3e3c28d5, v4
	v_mul_f32_e32 v63, 0xbe8c1d8e, v10
	v_add_f32_e32 v17, v68, v17
	v_add_f32_e32 v18, v21, v18
	v_fmamk_f32 v21, v62, 0xbe8c1d8e, v56
	v_add_f32_e32 v9, v9, v15
	v_add_f32_e32 v15, v69, v20
	v_fmamk_f32 v20, v4, 0xbf763a35, v63
	v_mul_f32_e32 v68, 0x3f2c7751, v59
	v_add_f32_e32 v21, v21, v27
	v_fma_f32 v27, 0xbe8c1d8e, v62, -v56
	v_mul_f32_e32 v56, 0x3f3d2fb0, v10
	v_add_f32_e32 v20, v20, v24
	v_fmamk_f32 v24, v62, 0x3f3d2fb0, v68
	v_fmac_f32_e32 v63, 0x3f763a35, v4
	v_mul_f32_e32 v69, 0x3f6eb680, v10
	v_add_f32_e32 v23, v27, v23
	v_mul_f32_e32 v27, 0xbeb8f4ab, v59
	v_add_f32_e32 v24, v24, v26
	v_fmamk_f32 v26, v4, 0xbf2c7751, v56
	v_fmac_f32_e32 v56, 0x3f2c7751, v4
	v_add_f32_e32 v25, v63, v25
	v_fma_f32 v63, 0x3f3d2fb0, v62, -v68
	v_fmamk_f32 v68, v62, 0x3f6eb680, v27
	v_add_f32_e32 v26, v26, v40
	v_add_f32_e32 v37, v56, v37
	v_fmamk_f32 v40, v4, 0x3eb8f4ab, v69
	v_mul_f32_e32 v56, 0xbf7ee86f, v59
	v_add_f32_e32 v22, v63, v22
	v_fma_f32 v27, 0x3f6eb680, v62, -v27
	v_mul_f32_e32 v63, 0x3dbcf732, v10
	v_add_f32_e32 v38, v40, v38
	v_fmamk_f32 v40, v62, 0x3dbcf732, v56
	v_fma_f32 v56, 0x3dbcf732, v62, -v56
	v_add_f32_e32 v27, v27, v36
	v_fmamk_f32 v36, v4, 0x3f7ee86f, v63
	v_mul_f32_e32 v59, 0xbf06c442, v59
	v_fmac_f32_e32 v63, 0xbf7ee86f, v4
	v_add_f32_e32 v41, v56, v41
	v_sub_f32_e32 v56, v249, v34
	v_add_f32_e32 v40, v40, v58
	v_add_f32_e32 v36, v36, v61
	v_fmamk_f32 v58, v62, 0xbf59a7d5, v59
	v_mul_f32_e32 v10, 0xbf59a7d5, v10
	v_add_f32_e32 v43, v63, v43
	v_add_f32_e32 v61, v248, v35
	v_mul_f32_e32 v63, 0xbf7ee86f, v56
	v_add_f32_e32 v34, v249, v34
	v_fmac_f32_e32 v69, 0xbeb8f4ab, v4
	v_add_f32_e32 v57, v58, v57
	v_fmamk_f32 v58, v4, 0x3f06c442, v10
	v_fma_f32 v59, 0xbf59a7d5, v62, -v59
	v_fmac_f32_e32 v10, 0xbf06c442, v4
	v_sub_f32_e32 v4, v248, v35
	v_fmamk_f32 v35, v61, 0x3dbcf732, v63
	v_mul_f32_e32 v62, 0x3dbcf732, v34
	v_add_f32_e32 v58, v58, v60
	v_add_f32_e32 v16, v59, v16
	;; [unrolled: 1-line block ×4, first 2 shown]
	v_fmamk_f32 v11, v4, 0x3f7ee86f, v62
	v_mul_f32_e32 v35, 0xbe3c28d5, v56
	v_fma_f32 v59, 0x3dbcf732, v61, -v63
	v_fmac_f32_e32 v62, 0xbf7ee86f, v4
	v_mul_f32_e32 v60, 0xbf7ba420, v34
	v_add_f32_e32 v7, v11, v7
	v_fmamk_f32 v11, v61, 0xbf7ba420, v35
	v_add_f32_e32 v8, v59, v8
	v_add_f32_e32 v5, v62, v5
	v_fmamk_f32 v59, v4, 0x3e3c28d5, v60
	v_mul_f32_e32 v62, 0x3f763a35, v56
	v_add_f32_e32 v11, v11, v12
	v_fma_f32 v12, 0xbf7ba420, v61, -v35
	v_fmac_f32_e32 v60, 0xbe3c28d5, v4
	v_add_f32_e32 v13, v59, v13
	v_fmamk_f32 v35, v61, 0xbe8c1d8e, v62
	v_mul_f32_e32 v59, 0xbe8c1d8e, v34
	v_add_f32_e32 v12, v12, v14
	v_add_f32_e32 v14, v60, v17
	v_mul_f32_e32 v17, 0x3eb8f4ab, v56
	v_add_f32_e32 v19, v35, v19
	v_fmamk_f32 v35, v4, 0xbf763a35, v59
	v_fma_f32 v60, 0xbe8c1d8e, v61, -v62
	v_fmac_f32_e32 v59, 0x3f763a35, v4
	v_mul_f32_e32 v63, 0x3f6eb680, v34
	v_fmamk_f32 v62, v61, 0x3f6eb680, v17
	v_add_f32_e32 v18, v35, v18
	v_add_f32_e32 v9, v60, v9
	;; [unrolled: 1-line block ×3, first 2 shown]
	v_fmamk_f32 v35, v4, 0xbeb8f4ab, v63
	v_mul_f32_e32 v59, 0xbf65296c, v56
	v_fma_f32 v17, 0x3f6eb680, v61, -v17
	v_fmac_f32_e32 v63, 0x3eb8f4ab, v4
	v_mul_f32_e32 v60, 0x3ee437d1, v34
	v_add_f32_e32 v21, v62, v21
	v_add_f32_e32 v20, v35, v20
	v_fmamk_f32 v35, v61, 0x3ee437d1, v59
	v_add_f32_e32 v17, v17, v23
	v_add_f32_e32 v23, v63, v25
	v_fmamk_f32 v25, v4, 0x3f65296c, v60
	v_mul_f32_e32 v62, 0xbf06c442, v56
	v_add_f32_e32 v39, v68, v39
	v_add_f32_e32 v24, v35, v24
	v_fma_f32 v35, 0x3ee437d1, v61, -v59
	v_fmac_f32_e32 v60, 0xbf65296c, v4
	v_add_f32_e32 v25, v25, v26
	v_fmamk_f32 v26, v61, 0xbf59a7d5, v62
	v_mul_f32_e32 v59, 0xbf59a7d5, v34
	v_add_f32_e32 v42, v69, v42
	v_add_f32_e32 v22, v35, v22
	;; [unrolled: 1-line block ×3, first 2 shown]
	v_mul_f32_e32 v37, 0x3f4c4adb, v56
	v_add_f32_e32 v26, v26, v39
	v_fmamk_f32 v39, v4, 0x3f06c442, v59
	v_fmac_f32_e32 v59, 0xbf06c442, v4
	v_mul_f32_e32 v63, 0xbf1a4643, v34
	v_fma_f32 v60, 0xbf59a7d5, v61, -v62
	v_fmamk_f32 v62, v61, 0xbf1a4643, v37
	v_add_f32_e32 v38, v39, v38
	v_add_f32_e32 v39, v59, v42
	v_fmamk_f32 v42, v4, 0xbf4c4adb, v63
	v_mul_f32_e32 v56, 0x3f2c7751, v56
	v_mul_f32_e32 v34, 0x3f3d2fb0, v34
	v_fma_f32 v37, 0xbf1a4643, v61, -v37
	v_fmac_f32_e32 v63, 0x3f4c4adb, v4
	v_add_f32_e32 v36, v42, v36
	v_fmamk_f32 v42, v61, 0x3f3d2fb0, v56
	v_fmamk_f32 v59, v4, 0xbf2c7751, v34
	v_add_f32_e32 v37, v37, v41
	v_add_f32_e32 v41, v63, v43
	v_sub_f32_e32 v43, v234, v65
	v_add_f32_e32 v27, v60, v27
	v_add_f32_e32 v42, v42, v57
	;; [unrolled: 1-line block ×5, first 2 shown]
	v_mul_f32_e32 v60, 0xbf763a35, v43
	v_fmac_f32_e32 v34, 0x3f2c7751, v4
	v_add_f32_e32 v40, v62, v40
	v_fma_f32 v56, 0x3f3d2fb0, v61, -v56
	v_sub_f32_e32 v4, v240, v64
	v_mul_f32_e32 v61, 0xbe8c1d8e, v59
	v_fmamk_f32 v62, v58, 0xbe8c1d8e, v60
	v_add_f32_e32 v6, v34, v6
	v_mul_f32_e32 v34, 0x3f06c442, v43
	v_add_f32_e32 v16, v56, v16
	v_fmamk_f32 v56, v4, 0x3f763a35, v61
	v_add_f32_e32 v10, v62, v10
	v_fma_f32 v60, 0xbe8c1d8e, v58, -v60
	v_fmamk_f32 v62, v58, 0xbf59a7d5, v34
	v_fmac_f32_e32 v61, 0xbf763a35, v4
	v_add_f32_e32 v7, v56, v7
	v_mul_f32_e32 v56, 0xbf59a7d5, v59
	v_fma_f32 v34, 0xbf59a7d5, v58, -v34
	v_add_f32_e32 v11, v62, v11
	v_mul_f32_e32 v62, 0x3f3d2fb0, v59
	v_add_f32_e32 v8, v60, v8
	v_add_f32_e32 v5, v61, v5
	v_mul_f32_e32 v60, 0x3f2c7751, v43
	v_fmamk_f32 v61, v4, 0xbf06c442, v56
	v_fmac_f32_e32 v56, 0x3f06c442, v4
	v_add_f32_e32 v12, v34, v12
	v_fmamk_f32 v34, v4, 0xbf2c7751, v62
	v_fmamk_f32 v63, v58, 0x3f3d2fb0, v60
	v_fma_f32 v60, 0x3f3d2fb0, v58, -v60
	v_add_f32_e32 v14, v56, v14
	v_mul_f32_e32 v56, 0xbf65296c, v43
	v_fmac_f32_e32 v62, 0x3f2c7751, v4
	v_add_f32_e32 v18, v34, v18
	v_mul_f32_e32 v34, 0x3ee437d1, v59
	v_add_f32_e32 v13, v61, v13
	v_fmamk_f32 v61, v58, 0x3ee437d1, v56
	v_add_f32_e32 v9, v60, v9
	v_add_f32_e32 v15, v62, v15
	v_mul_f32_e32 v60, 0xbe3c28d5, v43
	v_fmamk_f32 v62, v4, 0x3f65296c, v34
	v_add_f32_e32 v21, v61, v21
	v_fma_f32 v56, 0x3ee437d1, v58, -v56
	v_fmac_f32_e32 v34, 0xbf65296c, v4
	v_fmamk_f32 v61, v58, 0xbf7ba420, v60
	v_add_f32_e32 v20, v62, v20
	v_mul_f32_e32 v62, 0xbf7ba420, v59
	v_add_f32_e32 v17, v56, v17
	v_add_f32_e32 v23, v34, v23
	;; [unrolled: 1-line block ×3, first 2 shown]
	v_mul_f32_e32 v61, 0x3dbcf732, v59
	v_fmamk_f32 v56, v4, 0x3e3c28d5, v62
	v_mul_f32_e32 v34, 0x3f7ee86f, v43
	v_add_f32_e32 v19, v63, v19
	v_fma_f32 v60, 0xbf7ba420, v58, -v60
	v_fmac_f32_e32 v62, 0xbe3c28d5, v4
	v_add_f32_e32 v25, v56, v25
	v_fmamk_f32 v56, v4, 0xbf7ee86f, v61
	v_fmamk_f32 v63, v58, 0x3dbcf732, v34
	v_fma_f32 v34, 0x3dbcf732, v58, -v34
	v_fmac_f32_e32 v61, 0x3f7ee86f, v4
	v_add_f32_e32 v22, v60, v22
	v_add_f32_e32 v38, v56, v38
	v_mul_f32_e32 v56, 0x3f6eb680, v59
	v_mul_f32_e32 v60, 0xbeb8f4ab, v43
	v_add_f32_e32 v27, v34, v27
	v_add_f32_e32 v34, v61, v39
	v_mul_f32_e32 v39, 0xbf4c4adb, v43
	v_fmamk_f32 v43, v4, 0x3eb8f4ab, v56
	v_fmac_f32_e32 v56, 0xbeb8f4ab, v4
	v_add_f32_e32 v35, v62, v35
	v_fmamk_f32 v62, v58, 0x3f6eb680, v60
	v_fma_f32 v60, 0x3f6eb680, v58, -v60
	v_add_f32_e32 v36, v43, v36
	v_mul_f32_e32 v43, 0xbf1a4643, v59
	v_add_f32_e32 v41, v56, v41
	v_sub_f32_e32 v56, v53, v55
	v_add_f32_e32 v53, v53, v55
	v_fmamk_f32 v61, v58, 0xbf1a4643, v39
	v_fmamk_f32 v59, v4, 0x3f4c4adb, v43
	v_fma_f32 v39, 0xbf1a4643, v58, -v39
	v_add_f32_e32 v55, v52, v54
	v_mul_f32_e32 v58, 0xbf4c4adb, v56
	v_fmac_f32_e32 v43, 0xbf4c4adb, v4
	v_sub_f32_e32 v4, v52, v54
	v_mul_f32_e32 v52, 0xbf1a4643, v53
	v_add_f32_e32 v54, v59, v57
	v_fmamk_f32 v57, v55, 0xbf1a4643, v58
	v_add_f32_e32 v16, v39, v16
	v_add_f32_e32 v6, v43, v6
	v_fmamk_f32 v39, v4, 0x3f4c4adb, v52
	v_mul_f32_e32 v43, 0x3f763a35, v56
	v_fmac_f32_e32 v52, 0xbf4c4adb, v4
	v_add_f32_e32 v10, v57, v10
	v_fma_f32 v57, 0xbf1a4643, v55, -v58
	v_add_f32_e32 v7, v39, v7
	v_fmamk_f32 v39, v55, 0xbe8c1d8e, v43
	v_mul_f32_e32 v58, 0xbe8c1d8e, v53
	v_add_f32_e32 v5, v52, v5
	v_mul_f32_e32 v52, 0xbeb8f4ab, v56
	v_add_f32_e32 v8, v57, v8
	v_add_f32_e32 v11, v39, v11
	v_fmamk_f32 v39, v4, 0xbf763a35, v58
	v_fma_f32 v43, 0xbe8c1d8e, v55, -v43
	v_fmamk_f32 v57, v55, 0x3f6eb680, v52
	v_mul_f32_e32 v59, 0x3f6eb680, v53
	v_fmac_f32_e32 v58, 0x3f763a35, v4
	v_add_f32_e32 v13, v39, v13
	v_add_f32_e32 v12, v43, v12
	;; [unrolled: 1-line block ×3, first 2 shown]
	v_fmamk_f32 v39, v4, 0x3eb8f4ab, v59
	v_mul_f32_e32 v43, 0xbf06c442, v56
	v_fma_f32 v52, 0x3f6eb680, v55, -v52
	v_mul_f32_e32 v57, 0xbf59a7d5, v53
	v_add_f32_e32 v14, v58, v14
	v_add_f32_e32 v18, v39, v18
	v_fmamk_f32 v39, v55, 0xbf59a7d5, v43
	v_add_f32_e32 v9, v52, v9
	v_fmamk_f32 v52, v4, 0x3f06c442, v57
	v_mul_f32_e32 v58, 0x3f7ee86f, v56
	v_fmac_f32_e32 v59, 0xbeb8f4ab, v4
	v_add_f32_e32 v21, v39, v21
	v_fma_f32 v39, 0xbf59a7d5, v55, -v43
	v_add_f32_e32 v20, v52, v20
	v_fmamk_f32 v43, v55, 0x3dbcf732, v58
	v_mul_f32_e32 v52, 0x3dbcf732, v53
	v_add_f32_e32 v15, v59, v15
	v_mul_f32_e32 v59, 0x3f3d2fb0, v53
	v_fmac_f32_e32 v57, 0xbf06c442, v4
	v_add_f32_e32 v24, v43, v24
	v_fmamk_f32 v43, v4, 0xbf7ee86f, v52
	v_fmac_f32_e32 v52, 0x3f7ee86f, v4
	v_add_f32_e32 v40, v62, v40
	v_add_f32_e32 v17, v39, v17
	;; [unrolled: 1-line block ×5, first 2 shown]
	v_fmamk_f32 v43, v4, 0x3f2c7751, v59
	v_mul_f32_e32 v52, 0xbe3c28d5, v56
	v_mul_f32_e32 v39, 0xbf2c7751, v56
	v_fma_f32 v57, 0x3dbcf732, v55, -v58
	v_add_f32_e32 v37, v60, v37
	v_add_f32_e32 v38, v43, v38
	v_fmamk_f32 v43, v55, 0xbf7ba420, v52
	v_fmamk_f32 v58, v55, 0x3f3d2fb0, v39
	v_add_f32_e32 v22, v57, v22
	v_fma_f32 v39, 0x3f3d2fb0, v55, -v39
	v_mul_f32_e32 v57, 0xbf7ba420, v53
	v_add_f32_e32 v40, v43, v40
	v_fma_f32 v43, 0xbf7ba420, v55, -v52
	v_mul_f32_e32 v56, 0x3f65296c, v56
	v_add_f32_e32 v27, v39, v27
	v_fmamk_f32 v39, v4, 0x3e3c28d5, v57
	v_fmac_f32_e32 v57, 0xbe3c28d5, v4
	v_add_f32_e32 v37, v43, v37
	v_sub_f32_e32 v43, v49, v51
	v_add_f32_e32 v42, v61, v42
	v_add_f32_e32 v36, v39, v36
	v_fmamk_f32 v39, v55, 0x3ee437d1, v56
	v_mul_f32_e32 v52, 0x3ee437d1, v53
	v_add_f32_e32 v41, v57, v41
	v_add_f32_e32 v53, v48, v50
	v_mul_f32_e32 v57, 0xbf06c442, v43
	v_add_f32_e32 v49, v49, v51
	v_fmac_f32_e32 v59, 0xbf2c7751, v4
	v_add_f32_e32 v39, v39, v42
	v_fmamk_f32 v42, v4, 0xbf65296c, v52
	v_fma_f32 v51, 0x3ee437d1, v55, -v56
	v_fmac_f32_e32 v52, 0x3f65296c, v4
	v_sub_f32_e32 v4, v48, v50
	v_fmamk_f32 v48, v53, 0xbf59a7d5, v57
	v_mul_f32_e32 v50, 0xbf59a7d5, v49
	v_add_f32_e32 v42, v42, v54
	v_add_f32_e32 v16, v51, v16
	;; [unrolled: 1-line block ×4, first 2 shown]
	v_fmamk_f32 v48, v4, 0x3f06c442, v50
	v_mul_f32_e32 v51, 0x3f65296c, v43
	v_fma_f32 v52, 0xbf59a7d5, v53, -v57
	v_fmac_f32_e32 v50, 0xbf06c442, v4
	v_mul_f32_e32 v54, 0x3ee437d1, v49
	v_add_f32_e32 v7, v48, v7
	v_fmamk_f32 v48, v53, 0x3ee437d1, v51
	v_add_f32_e32 v8, v52, v8
	v_add_f32_e32 v5, v50, v5
	v_fmamk_f32 v50, v4, 0xbf65296c, v54
	v_mul_f32_e32 v52, 0xbf7ee86f, v43
	v_add_f32_e32 v11, v48, v11
	v_fma_f32 v48, 0x3ee437d1, v53, -v51
	v_mul_f32_e32 v51, 0x3dbcf732, v49
	v_add_f32_e32 v13, v50, v13
	v_fmamk_f32 v50, v53, 0x3dbcf732, v52
	v_fmac_f32_e32 v54, 0x3f65296c, v4
	v_add_f32_e32 v12, v48, v12
	v_mul_f32_e32 v48, 0x3f4c4adb, v43
	v_fma_f32 v52, 0x3dbcf732, v53, -v52
	v_add_f32_e32 v19, v50, v19
	v_fmamk_f32 v50, v4, 0x3f7ee86f, v51
	v_fmac_f32_e32 v51, 0xbf7ee86f, v4
	v_mul_f32_e32 v55, 0xbf1a4643, v49
	v_add_f32_e32 v14, v54, v14
	v_fmamk_f32 v54, v53, 0xbf1a4643, v48
	v_add_f32_e32 v18, v50, v18
	v_add_f32_e32 v9, v52, v9
	v_add_f32_e32 v15, v51, v15
	v_fmamk_f32 v50, v4, 0xbf4c4adb, v55
	v_mul_f32_e32 v51, 0xbeb8f4ab, v43
	v_fma_f32 v48, 0xbf1a4643, v53, -v48
	v_mul_f32_e32 v52, 0x3f6eb680, v49
	v_add_f32_e32 v26, v63, v26
	v_add_f32_e32 v21, v54, v21
	v_fmac_f32_e32 v55, 0x3f4c4adb, v4
	v_add_f32_e32 v20, v50, v20
	v_fmamk_f32 v50, v53, 0x3f6eb680, v51
	v_add_f32_e32 v17, v48, v17
	v_fmamk_f32 v48, v4, 0x3eb8f4ab, v52
	v_mul_f32_e32 v54, 0xbe3c28d5, v43
	v_fmac_f32_e32 v52, 0xbeb8f4ab, v4
	v_add_f32_e32 v26, v58, v26
	v_add_f32_e32 v23, v55, v23
	;; [unrolled: 1-line block ×3, first 2 shown]
	v_fma_f32 v50, 0x3f6eb680, v53, -v51
	v_add_f32_e32 v25, v48, v25
	v_fmamk_f32 v48, v53, 0xbf7ba420, v54
	v_mul_f32_e32 v51, 0xbf7ba420, v49
	v_add_f32_e32 v55, v52, v35
	v_mul_f32_e32 v35, 0x3f2c7751, v43
	v_add_f32_e32 v34, v59, v34
	v_add_f32_e32 v22, v50, v22
	;; [unrolled: 1-line block ×3, first 2 shown]
	v_fmamk_f32 v48, v4, 0x3e3c28d5, v51
	v_fma_f32 v50, 0xbf7ba420, v53, -v54
	v_fmac_f32_e32 v51, 0xbe3c28d5, v4
	v_fmamk_f32 v52, v53, 0x3f3d2fb0, v35
	v_mul_f32_e32 v54, 0x3f3d2fb0, v49
	v_add_f32_e32 v57, v48, v38
	v_mul_f32_e32 v38, 0xbf763a35, v43
	v_add_f32_e32 v58, v51, v34
	v_add_f32_e32 v59, v52, v40
	v_fmamk_f32 v34, v4, 0xbf2c7751, v54
	v_mul_f32_e32 v40, 0xbe8c1d8e, v49
	v_fma_f32 v35, 0x3f3d2fb0, v53, -v35
	v_sub_f32_e32 v64, v46, v47
	v_add_f32_e32 v93, v46, v47
	v_add_f32_e32 v61, v34, v36
	v_fmamk_f32 v34, v53, 0xbe8c1d8e, v38
	v_fmamk_f32 v36, v4, 0x3f763a35, v40
	v_fmac_f32_e32 v54, 0x3f2c7751, v4
	v_add_f32_e32 v62, v35, v37
	v_add_f32_e32 v69, v44, v45
	;; [unrolled: 1-line block ×4, first 2 shown]
	v_mul_f32_e32 v34, 0xbe3c28d5, v64
	v_fma_f32 v35, 0xbe8c1d8e, v53, -v38
	v_fmac_f32_e32 v40, 0xbf763a35, v4
	v_sub_f32_e32 v4, v44, v45
	v_mul_f32_e32 v36, 0xbf7ba420, v93
	v_add_f32_e32 v63, v54, v41
	v_fmamk_f32 v37, v69, 0xbf7ba420, v34
	v_add_f32_e32 v16, v35, v16
	v_mul_f32_e32 v41, 0x3eb8f4ab, v64
	v_fmamk_f32 v35, v4, 0x3e3c28d5, v36
	v_fmac_f32_e32 v36, 0xbe3c28d5, v4
	v_add_f32_e32 v38, v37, v10
	v_fma_f32 v10, 0xbf7ba420, v69, -v34
	v_fmamk_f32 v37, v69, 0x3f6eb680, v41
	v_add_f32_e32 v39, v35, v7
	v_mul_f32_e32 v7, 0x3f6eb680, v93
	v_add_f32_e32 v6, v40, v6
	v_add_f32_e32 v34, v10, v8
	;; [unrolled: 1-line block ×4, first 2 shown]
	v_mul_f32_e32 v5, 0xbf06c442, v64
	v_fmamk_f32 v8, v4, 0xbeb8f4ab, v7
	v_fma_f32 v10, 0x3f6eb680, v69, -v41
	v_fmac_f32_e32 v7, 0x3eb8f4ab, v4
	v_mul_f32_e32 v11, 0xbf59a7d5, v93
	v_fmamk_f32 v42, v69, 0xbf59a7d5, v5
	v_add_f32_e32 v41, v8, v13
	v_add_f32_e32 v36, v10, v12
	v_add_f32_e32 v37, v7, v14
	v_fmamk_f32 v7, v4, 0x3f06c442, v11
	v_mul_f32_e32 v8, 0x3f2c7751, v64
	v_fma_f32 v5, 0xbf59a7d5, v69, -v5
	v_mul_f32_e32 v10, 0x3f3d2fb0, v93
	v_add_f32_e32 v46, v42, v19
	v_add_f32_e32 v47, v7, v18
	v_fmamk_f32 v7, v69, 0x3f3d2fb0, v8
	v_add_f32_e32 v42, v5, v9
	v_fmamk_f32 v5, v4, 0xbf2c7751, v10
	v_fma_f32 v8, 0x3f3d2fb0, v69, -v8
	v_fmac_f32_e32 v10, 0x3f2c7751, v4
	v_add_f32_e32 v27, v50, v27
	v_add_f32_e32 v9, v189, v251
	;; [unrolled: 1-line block ×4, first 2 shown]
	v_mul_f32_e32 v5, 0xbf4c4adb, v64
	v_add_f32_e32 v8, v188, v250
	v_add_f32_e32 v45, v10, v23
	;; [unrolled: 1-line block ×3, first 2 shown]
	v_fmac_f32_e32 v11, 0xbf06c442, v4
	v_fmamk_f32 v10, v69, 0xbf1a4643, v5
	v_fma_f32 v5, 0xbf1a4643, v69, -v5
	v_add_f32_e32 v8, v8, v246
	v_add_f32_e32 v48, v7, v21
	v_mul_f32_e32 v7, 0xbf1a4643, v93
	v_add_f32_e32 v43, v11, v15
	v_add_f32_e32 v50, v5, v22
	;; [unrolled: 1-line block ×4, first 2 shown]
	v_fmamk_f32 v11, v4, 0x3f4c4adb, v7
	v_fmac_f32_e32 v7, 0xbf4c4adb, v4
	v_mul_f32_e32 v9, 0x3f65296c, v64
	v_add_f32_e32 v5, v5, v238
	v_add_f32_e32 v8, v8, v239
	;; [unrolled: 1-line block ×4, first 2 shown]
	v_fmamk_f32 v7, v69, 0x3ee437d1, v9
	v_add_f32_e32 v5, v5, v90
	v_add_f32_e32 v8, v8, v91
	v_mul_f32_e32 v10, 0x3ee437d1, v93
	v_fma_f32 v9, 0x3ee437d1, v69, -v9
	v_add_f32_e32 v56, v7, v26
	v_add_f32_e32 v5, v5, v88
	;; [unrolled: 1-line block ×4, first 2 shown]
	v_fmamk_f32 v11, v4, 0xbf65296c, v10
	v_add_f32_e32 v54, v9, v27
	v_add_f32_e32 v5, v5, v75
	v_fmac_f32_e32 v10, 0x3f65296c, v4
	v_add_f32_e32 v7, v7, v76
	v_mul_f32_e32 v9, 0xbe8c1d8e, v93
	v_mul_f32_e32 v8, 0xbf763a35, v64
	v_add_f32_e32 v5, v5, v1
	v_add_f32_e32 v55, v10, v58
	;; [unrolled: 1-line block ×3, first 2 shown]
	v_fmamk_f32 v10, v4, 0x3f763a35, v9
	v_add_f32_e32 v57, v11, v57
	v_add_f32_e32 v5, v5, v73
	v_fmamk_f32 v11, v69, 0xbe8c1d8e, v8
	v_fma_f32 v8, 0xbe8c1d8e, v69, -v8
	v_add_f32_e32 v7, v7, v74
	v_add_f32_e32 v61, v10, v61
	;; [unrolled: 1-line block ×3, first 2 shown]
	v_mul_f32_e32 v10, 0x3f7ee86f, v64
	v_add_f32_e32 v60, v11, v59
	v_add_f32_e32 v58, v8, v62
	;; [unrolled: 1-line block ×4, first 2 shown]
	v_fmamk_f32 v8, v69, 0x3dbcf732, v10
	v_mul_f32_e32 v11, 0x3dbcf732, v93
	v_fmac_f32_e32 v9, 0xbf763a35, v4
	v_add_f32_e32 v7, v7, v80
	v_add_f32_e32 v5, v5, v81
	;; [unrolled: 1-line block ×3, first 2 shown]
	v_fmamk_f32 v8, v4, 0xbf7ee86f, v11
	v_fmac_f32_e32 v11, 0x3f7ee86f, v4
	v_add_f32_e32 v7, v7, v82
	v_add_f32_e32 v4, v5, v83
	;; [unrolled: 1-line block ×3, first 2 shown]
	v_fma_f32 v9, 0x3dbcf732, v69, -v10
	v_add_f32_e32 v65, v11, v6
	v_add_f32_e32 v5, v7, v84
	;; [unrolled: 1-line block ×3, first 2 shown]
	v_sub_f32_e32 v6, v251, v67
	v_add_f32_e32 v63, v8, v68
	v_add_f32_e32 v64, v9, v16
	;; [unrolled: 1-line block ×6, first 2 shown]
	v_mul_f32_e32 v9, 0xbeb8f4ab, v6
	v_sub_f32_e32 v10, v250, v66
	v_add_f32_e32 v66, v4, v66
	v_mul_f32_e32 v4, 0xbf2c7751, v6
	v_mul_f32_e32 v15, 0xbf65296c, v6
	;; [unrolled: 1-line block ×7, first 2 shown]
	v_add_f32_e32 v5, v5, v92
	v_mul_f32_e32 v11, 0x3f6eb680, v8
	v_fmamk_f32 v12, v7, 0x3f6eb680, v9
	v_fma_f32 v9, 0x3f6eb680, v7, -v9
	v_fmamk_f32 v13, v7, 0x3f3d2fb0, v4
	v_mul_f32_e32 v14, 0x3f3d2fb0, v8
	v_fma_f32 v4, 0x3f3d2fb0, v7, -v4
	v_mul_f32_e32 v17, 0x3ee437d1, v8
	v_fmamk_f32 v18, v7, 0x3ee437d1, v15
	v_fma_f32 v15, 0x3ee437d1, v7, -v15
	v_mul_f32_e32 v21, 0x3dbcf732, v8
	v_fmamk_f32 v22, v7, 0x3dbcf732, v20
	v_fma_f32 v20, 0x3dbcf732, v7, -v20
	v_fmamk_f32 v25, v7, 0xbe8c1d8e, v23
	v_mul_f32_e32 v26, 0xbe8c1d8e, v8
	v_fma_f32 v23, 0xbe8c1d8e, v7, -v23
	v_mul_f32_e32 v69, 0xbf1a4643, v8
	v_fmamk_f32 v93, v7, 0xbf1a4643, v27
	v_fma_f32 v27, 0xbf1a4643, v7, -v27
	v_mul_f32_e32 v186, 0xbf59a7d5, v8
	v_fmamk_f32 v187, v7, 0xbf59a7d5, v95
	v_fma_f32 v95, 0xbf59a7d5, v7, -v95
	v_fmamk_f32 v191, v7, 0xbf7ba420, v6
	v_mul_f32_e32 v8, 0xbf7ba420, v8
	v_sub_f32_e32 v192, v247, v92
	v_fma_f32 v6, 0xbf7ba420, v7, -v6
	v_add_f32_e32 v7, v247, v92
	v_add_f32_e32 v67, v5, v67
	v_fmamk_f32 v5, v10, 0x3eb8f4ab, v11
	v_fmac_f32_e32 v11, 0xbeb8f4ab, v10
	v_fmamk_f32 v16, v10, 0x3f2c7751, v14
	v_fmac_f32_e32 v14, 0xbf2c7751, v10
	;; [unrolled: 2-line block ×7, first 2 shown]
	v_fmamk_f32 v193, v10, 0x3e3c28d5, v8
	v_add_f32_e32 v92, v246, v87
	v_mul_f32_e32 v194, 0xbf2c7751, v192
	v_fmac_f32_e32 v8, 0xbe3c28d5, v10
	v_sub_f32_e32 v10, v246, v87
	v_mul_f32_e32 v87, 0x3f3d2fb0, v7
	v_add_f32_e32 v12, v188, v12
	v_add_f32_e32 v5, v189, v5
	v_add_f32_e32 v9, v188, v9
	v_add_f32_e32 v11, v189, v11
	v_add_f32_e32 v13, v188, v13
	v_add_f32_e32 v16, v189, v16
	v_add_f32_e32 v4, v188, v4
	v_add_f32_e32 v14, v189, v14
	v_add_f32_e32 v18, v188, v18
	v_add_f32_e32 v19, v189, v19
	v_add_f32_e32 v15, v188, v15
	v_add_f32_e32 v17, v189, v17
	v_add_f32_e32 v22, v188, v22
	v_add_f32_e32 v24, v189, v24
	v_add_f32_e32 v20, v188, v20
	v_add_f32_e32 v21, v189, v21
	v_add_f32_e32 v25, v188, v25
	v_add_f32_e32 v68, v189, v68
	v_add_f32_e32 v23, v188, v23
	v_add_f32_e32 v26, v189, v26
	v_add_f32_e32 v93, v188, v93
	v_add_f32_e32 v94, v189, v94
	v_add_f32_e32 v27, v188, v27
	v_add_f32_e32 v69, v189, v69
	v_add_f32_e32 v187, v188, v187
	v_add_f32_e32 v190, v189, v190
	v_add_f32_e32 v95, v188, v95
	v_add_f32_e32 v186, v189, v186
	v_add_f32_e32 v191, v188, v191
	v_add_f32_e32 v193, v189, v193
	v_fmamk_f32 v195, v92, 0x3f3d2fb0, v194
	v_add_f32_e32 v6, v188, v6
	v_add_f32_e32 v8, v189, v8
	v_fmamk_f32 v188, v10, 0x3f2c7751, v87
	v_mul_f32_e32 v189, 0xbf7ee86f, v192
	v_add_f32_e32 v12, v195, v12
	v_fmac_f32_e32 v87, 0xbf2c7751, v10
	v_mul_f32_e32 v195, 0x3dbcf732, v7
	v_add_f32_e32 v5, v188, v5
	v_fmamk_f32 v188, v92, 0x3dbcf732, v189
	v_fma_f32 v194, 0x3f3d2fb0, v92, -v194
	v_add_f32_e32 v11, v87, v11
	v_mul_f32_e32 v87, 0xbf4c4adb, v192
	v_fma_f32 v189, 0x3dbcf732, v92, -v189
	v_add_f32_e32 v13, v188, v13
	v_fmamk_f32 v188, v10, 0x3f7ee86f, v195
	v_mul_f32_e32 v196, 0xbf1a4643, v7
	v_add_f32_e32 v9, v194, v9
	v_fmamk_f32 v194, v92, 0xbf1a4643, v87
	v_add_f32_e32 v4, v189, v4
	v_add_f32_e32 v16, v188, v16
	v_fmamk_f32 v188, v10, 0x3f4c4adb, v196
	v_mul_f32_e32 v189, 0xbe3c28d5, v192
	v_fmac_f32_e32 v195, 0xbf7ee86f, v10
	v_add_f32_e32 v18, v194, v18
	v_fma_f32 v87, 0xbf1a4643, v92, -v87
	v_mul_f32_e32 v194, 0xbf7ba420, v7
	v_add_f32_e32 v19, v188, v19
	v_fmamk_f32 v188, v92, 0xbf7ba420, v189
	v_add_f32_e32 v14, v195, v14
	v_add_f32_e32 v15, v87, v15
	v_fmamk_f32 v87, v10, 0x3e3c28d5, v194
	v_mul_f32_e32 v195, 0x3f06c442, v192
	v_add_f32_e32 v22, v188, v22
	v_fma_f32 v188, 0xbf7ba420, v92, -v189
	v_fmac_f32_e32 v196, 0xbf4c4adb, v10
	v_fmac_f32_e32 v194, 0xbe3c28d5, v10
	v_add_f32_e32 v24, v87, v24
	v_fmamk_f32 v87, v92, 0xbf59a7d5, v195
	v_mul_f32_e32 v189, 0xbf59a7d5, v7
	v_add_f32_e32 v20, v188, v20
	v_mul_f32_e32 v188, 0x3f763a35, v192
	v_add_f32_e32 v17, v196, v17
	v_add_f32_e32 v21, v194, v21
	;; [unrolled: 1-line block ×3, first 2 shown]
	v_fmamk_f32 v87, v10, 0xbf06c442, v189
	v_fma_f32 v194, 0xbf59a7d5, v92, -v195
	v_fmac_f32_e32 v189, 0x3f06c442, v10
	v_fmamk_f32 v195, v92, 0xbe8c1d8e, v188
	v_mul_f32_e32 v196, 0xbe8c1d8e, v7
	v_add_f32_e32 v68, v87, v68
	v_add_f32_e32 v23, v194, v23
	;; [unrolled: 1-line block ×4, first 2 shown]
	v_fmamk_f32 v93, v10, 0xbf763a35, v196
	v_mul_f32_e32 v189, 0x3f65296c, v192
	v_fma_f32 v188, 0xbe8c1d8e, v92, -v188
	v_mul_f32_e32 v194, 0x3ee437d1, v7
	v_mul_f32_e32 v192, 0x3eb8f4ab, v192
	v_add_f32_e32 v93, v93, v94
	v_fmamk_f32 v94, v92, 0x3ee437d1, v189
	v_add_f32_e32 v27, v188, v27
	v_fmamk_f32 v188, v10, 0xbf65296c, v194
	v_fmac_f32_e32 v194, 0x3f65296c, v10
	v_mul_f32_e32 v7, 0x3f6eb680, v7
	v_add_f32_e32 v94, v94, v187
	v_fma_f32 v187, 0x3ee437d1, v92, -v189
	v_fmamk_f32 v189, v92, 0x3f6eb680, v192
	v_add_f32_e32 v186, v194, v186
	v_fmac_f32_e32 v196, 0x3f763a35, v10
	v_add_f32_e32 v188, v188, v190
	v_add_f32_e32 v95, v187, v95
	v_sub_f32_e32 v187, v243, v86
	v_add_f32_e32 v189, v189, v191
	v_add_f32_e32 v191, v242, v85
	;; [unrolled: 1-line block ×3, first 2 shown]
	v_fmamk_f32 v190, v10, 0xbeb8f4ab, v7
	v_mul_f32_e32 v194, 0xbf65296c, v187
	v_fma_f32 v92, 0x3f6eb680, v92, -v192
	v_fmac_f32_e32 v7, 0x3eb8f4ab, v10
	v_sub_f32_e32 v10, v242, v85
	v_mul_f32_e32 v192, 0x3ee437d1, v86
	v_fmamk_f32 v85, v191, 0x3ee437d1, v194
	v_add_f32_e32 v190, v190, v193
	v_add_f32_e32 v6, v92, v6
	;; [unrolled: 1-line block ×3, first 2 shown]
	v_fma_f32 v92, 0x3ee437d1, v191, -v194
	v_add_f32_e32 v8, v85, v12
	v_fmamk_f32 v12, v10, 0x3f65296c, v192
	v_mul_f32_e32 v85, 0xbf4c4adb, v187
	v_fmac_f32_e32 v192, 0xbf65296c, v10
	v_mul_f32_e32 v193, 0xbf1a4643, v86
	v_add_f32_e32 v9, v92, v9
	v_add_f32_e32 v5, v12, v5
	v_fmamk_f32 v12, v191, 0xbf1a4643, v85
	v_add_f32_e32 v11, v192, v11
	v_fmamk_f32 v92, v10, 0x3f4c4adb, v193
	v_mul_f32_e32 v192, 0x3e3c28d5, v187
	v_fmac_f32_e32 v193, 0xbf4c4adb, v10
	v_add_f32_e32 v12, v12, v13
	v_fma_f32 v13, 0xbf1a4643, v191, -v85
	v_add_f32_e32 v16, v92, v16
	v_fmamk_f32 v85, v191, 0xbf7ba420, v192
	v_mul_f32_e32 v92, 0xbf7ba420, v86
	v_mul_f32_e32 v194, 0xbe8c1d8e, v86
	v_add_f32_e32 v4, v13, v4
	v_add_f32_e32 v13, v193, v14
	;; [unrolled: 1-line block ×3, first 2 shown]
	v_fmamk_f32 v85, v10, 0xbe3c28d5, v92
	v_fmac_f32_e32 v92, 0x3e3c28d5, v10
	v_mul_f32_e32 v14, 0x3f763a35, v187
	v_fma_f32 v192, 0xbf7ba420, v191, -v192
	v_add_f32_e32 v69, v196, v69
	v_add_f32_e32 v19, v85, v19
	;; [unrolled: 1-line block ×3, first 2 shown]
	v_fmamk_f32 v85, v10, 0xbf763a35, v194
	v_mul_f32_e32 v92, 0x3f2c7751, v187
	v_fmamk_f32 v193, v191, 0xbe8c1d8e, v14
	v_add_f32_e32 v15, v192, v15
	v_fma_f32 v14, 0xbe8c1d8e, v191, -v14
	v_fmac_f32_e32 v194, 0x3f763a35, v10
	v_mul_f32_e32 v192, 0x3f3d2fb0, v86
	v_add_f32_e32 v24, v85, v24
	v_fmamk_f32 v85, v191, 0x3f3d2fb0, v92
	v_add_f32_e32 v22, v193, v22
	v_add_f32_e32 v14, v14, v20
	;; [unrolled: 1-line block ×3, first 2 shown]
	v_fmamk_f32 v21, v10, 0xbf2c7751, v192
	v_mul_f32_e32 v193, 0xbeb8f4ab, v187
	v_add_f32_e32 v25, v85, v25
	v_fma_f32 v85, 0x3f3d2fb0, v191, -v92
	v_fmac_f32_e32 v192, 0x3f2c7751, v10
	v_add_f32_e32 v21, v21, v68
	v_fmamk_f32 v68, v191, 0x3f6eb680, v193
	v_mul_f32_e32 v92, 0x3f6eb680, v86
	v_add_f32_e32 v23, v85, v23
	v_mul_f32_e32 v85, 0xbf7ee86f, v187
	v_add_f32_e32 v26, v192, v26
	v_add_f32_e32 v68, v68, v87
	v_fmamk_f32 v87, v10, 0x3eb8f4ab, v92
	v_fma_f32 v192, 0x3f6eb680, v191, -v193
	v_fmac_f32_e32 v92, 0xbeb8f4ab, v10
	v_fmamk_f32 v193, v191, 0x3dbcf732, v85
	v_mul_f32_e32 v194, 0x3dbcf732, v86
	v_add_f32_e32 v87, v87, v93
	v_fma_f32 v85, 0x3dbcf732, v191, -v85
	v_add_f32_e32 v69, v92, v69
	v_add_f32_e32 v92, v193, v94
	v_fmamk_f32 v93, v10, 0x3f7ee86f, v194
	v_mul_f32_e32 v94, 0xbf06c442, v187
	v_fmac_f32_e32 v194, 0xbf7ee86f, v10
	v_mul_f32_e32 v86, 0xbf59a7d5, v86
	v_add_f32_e32 v85, v85, v95
	v_add_f32_e32 v93, v93, v188
	v_fmamk_f32 v187, v191, 0xbf59a7d5, v94
	v_add_f32_e32 v95, v194, v186
	v_sub_f32_e32 v186, v239, v84
	v_add_f32_e32 v84, v239, v84
	v_fmamk_f32 v188, v10, 0x3f06c442, v86
	v_add_f32_e32 v187, v187, v189
	v_add_f32_e32 v189, v238, v83
	v_fma_f32 v94, 0xbf59a7d5, v191, -v94
	v_fmac_f32_e32 v86, 0xbf06c442, v10
	v_sub_f32_e32 v10, v238, v83
	v_mul_f32_e32 v83, 0x3dbcf732, v84
	v_add_f32_e32 v188, v188, v190
	v_mul_f32_e32 v190, 0xbf7ee86f, v186
	v_add_f32_e32 v6, v94, v6
	v_add_f32_e32 v7, v86, v7
	v_fmamk_f32 v94, v10, 0x3f7ee86f, v83
	v_mul_f32_e32 v86, 0xbe3c28d5, v186
	v_fmamk_f32 v191, v189, 0x3dbcf732, v190
	v_fma_f32 v190, 0x3dbcf732, v189, -v190
	v_fmac_f32_e32 v83, 0xbf7ee86f, v10
	v_add_f32_e32 v5, v94, v5
	v_mul_f32_e32 v94, 0xbf7ba420, v84
	v_add_f32_e32 v8, v191, v8
	v_fmamk_f32 v191, v189, 0xbf7ba420, v86
	v_add_f32_e32 v9, v190, v9
	v_add_f32_e32 v11, v83, v11
	v_mul_f32_e32 v83, 0x3f763a35, v186
	v_fmamk_f32 v190, v10, 0x3e3c28d5, v94
	v_fmac_f32_e32 v94, 0xbe3c28d5, v10
	v_add_f32_e32 v27, v192, v27
	v_add_f32_e32 v12, v191, v12
	v_fma_f32 v86, 0xbf7ba420, v189, -v86
	v_mul_f32_e32 v191, 0xbe8c1d8e, v84
	v_fmamk_f32 v192, v189, 0xbe8c1d8e, v83
	v_add_f32_e32 v13, v94, v13
	v_mul_f32_e32 v94, 0x3eb8f4ab, v186
	v_fma_f32 v83, 0xbe8c1d8e, v189, -v83
	v_add_f32_e32 v16, v190, v16
	v_add_f32_e32 v4, v86, v4
	v_fmamk_f32 v86, v10, 0xbf763a35, v191
	v_fmamk_f32 v190, v189, 0x3f6eb680, v94
	v_add_f32_e32 v15, v83, v15
	v_mul_f32_e32 v83, 0xbf65296c, v186
	v_fmac_f32_e32 v191, 0x3f763a35, v10
	v_add_f32_e32 v19, v86, v19
	v_mul_f32_e32 v86, 0x3f6eb680, v84
	v_add_f32_e32 v22, v190, v22
	v_fmamk_f32 v190, v189, 0x3ee437d1, v83
	v_add_f32_e32 v17, v191, v17
	v_fma_f32 v83, 0x3ee437d1, v189, -v83
	v_fmamk_f32 v191, v10, 0xbeb8f4ab, v86
	v_fmac_f32_e32 v86, 0x3eb8f4ab, v10
	v_add_f32_e32 v25, v190, v25
	v_mul_f32_e32 v190, 0xbf59a7d5, v84
	v_fma_f32 v94, 0x3f6eb680, v189, -v94
	v_add_f32_e32 v24, v191, v24
	v_mul_f32_e32 v191, 0x3ee437d1, v84
	v_add_f32_e32 v20, v86, v20
	v_mul_f32_e32 v86, 0xbf06c442, v186
	v_add_f32_e32 v23, v83, v23
	v_fmamk_f32 v83, v10, 0x3f06c442, v190
	v_add_f32_e32 v18, v192, v18
	v_add_f32_e32 v14, v94, v14
	v_fmamk_f32 v94, v10, 0x3f65296c, v191
	v_fmamk_f32 v192, v189, 0xbf59a7d5, v86
	v_fma_f32 v86, 0xbf59a7d5, v189, -v86
	v_add_f32_e32 v83, v83, v87
	v_mul_f32_e32 v87, 0xbf1a4643, v84
	v_fmac_f32_e32 v191, 0xbf65296c, v10
	v_add_f32_e32 v21, v94, v21
	v_mul_f32_e32 v94, 0x3f4c4adb, v186
	v_fmac_f32_e32 v190, 0xbf06c442, v10
	v_add_f32_e32 v27, v86, v27
	v_mul_f32_e32 v86, 0x3f2c7751, v186
	v_fmamk_f32 v186, v10, 0xbf4c4adb, v87
	v_fmac_f32_e32 v87, 0x3f4c4adb, v10
	v_add_f32_e32 v26, v191, v26
	v_fmamk_f32 v191, v189, 0xbf1a4643, v94
	v_add_f32_e32 v69, v190, v69
	v_fma_f32 v94, 0xbf1a4643, v189, -v94
	v_fmamk_f32 v190, v189, 0x3f3d2fb0, v86
	v_mul_f32_e32 v84, 0x3f3d2fb0, v84
	v_add_f32_e32 v87, v87, v95
	v_sub_f32_e32 v95, v91, v82
	v_add_f32_e32 v82, v91, v82
	v_add_f32_e32 v93, v186, v93
	;; [unrolled: 1-line block ×4, first 2 shown]
	v_fmamk_f32 v186, v10, 0xbf2c7751, v84
	v_fma_f32 v86, 0x3f3d2fb0, v189, -v86
	v_add_f32_e32 v91, v90, v81
	v_mul_f32_e32 v187, 0xbf763a35, v95
	v_fmac_f32_e32 v84, 0x3f2c7751, v10
	v_sub_f32_e32 v10, v90, v81
	v_mul_f32_e32 v81, 0xbe8c1d8e, v82
	v_add_f32_e32 v90, v186, v188
	v_fmamk_f32 v186, v91, 0xbe8c1d8e, v187
	v_add_f32_e32 v6, v86, v6
	v_add_f32_e32 v7, v84, v7
	v_fmamk_f32 v84, v10, 0x3f763a35, v81
	v_mul_f32_e32 v86, 0x3f06c442, v95
	v_fmac_f32_e32 v81, 0xbf763a35, v10
	v_add_f32_e32 v8, v186, v8
	v_fma_f32 v186, 0xbe8c1d8e, v91, -v187
	v_add_f32_e32 v5, v84, v5
	v_fmamk_f32 v84, v91, 0xbf59a7d5, v86
	v_mul_f32_e32 v187, 0xbf59a7d5, v82
	v_add_f32_e32 v11, v81, v11
	v_mul_f32_e32 v81, 0x3f2c7751, v95
	v_add_f32_e32 v9, v186, v9
	v_add_f32_e32 v12, v84, v12
	v_fmamk_f32 v84, v10, 0xbf06c442, v187
	v_fma_f32 v86, 0xbf59a7d5, v91, -v86
	v_fmamk_f32 v186, v91, 0x3f3d2fb0, v81
	v_mul_f32_e32 v188, 0x3f3d2fb0, v82
	v_fmac_f32_e32 v187, 0x3f06c442, v10
	v_add_f32_e32 v16, v84, v16
	v_add_f32_e32 v4, v86, v4
	v_add_f32_e32 v18, v186, v18
	v_fmamk_f32 v84, v10, 0xbf2c7751, v188
	v_mul_f32_e32 v86, 0xbf65296c, v95
	v_fma_f32 v81, 0x3f3d2fb0, v91, -v81
	v_mul_f32_e32 v186, 0x3ee437d1, v82
	v_add_f32_e32 v13, v187, v13
	v_add_f32_e32 v19, v84, v19
	v_fmamk_f32 v84, v91, 0x3ee437d1, v86
	v_add_f32_e32 v15, v81, v15
	v_fmamk_f32 v81, v10, 0x3f65296c, v186
	v_mul_f32_e32 v187, 0xbe3c28d5, v95
	v_fmac_f32_e32 v188, 0x3f2c7751, v10
	v_add_f32_e32 v22, v84, v22
	v_fma_f32 v84, 0x3ee437d1, v91, -v86
	v_add_f32_e32 v24, v81, v24
	v_fmamk_f32 v81, v91, 0xbf7ba420, v187
	v_mul_f32_e32 v86, 0xbf7ba420, v82
	v_add_f32_e32 v17, v188, v17
	v_fmac_f32_e32 v186, 0xbf65296c, v10
	v_mul_f32_e32 v188, 0x3dbcf732, v82
	v_add_f32_e32 v25, v81, v25
	v_fmamk_f32 v81, v10, 0x3e3c28d5, v86
	v_fmac_f32_e32 v86, 0xbe3c28d5, v10
	v_add_f32_e32 v14, v84, v14
	v_add_f32_e32 v20, v186, v20
	v_mul_f32_e32 v84, 0x3f7ee86f, v95
	v_fma_f32 v186, 0xbf7ba420, v91, -v187
	v_add_f32_e32 v21, v81, v21
	v_add_f32_e32 v26, v86, v26
	v_fmamk_f32 v81, v10, 0xbf7ee86f, v188
	v_mul_f32_e32 v86, 0xbeb8f4ab, v95
	v_add_f32_e32 v92, v191, v92
	v_fmamk_f32 v187, v91, 0x3dbcf732, v84
	v_add_f32_e32 v23, v186, v23
	v_fma_f32 v84, 0x3dbcf732, v91, -v84
	v_mul_f32_e32 v186, 0x3f6eb680, v82
	v_add_f32_e32 v81, v81, v83
	v_fmamk_f32 v83, v91, 0x3f6eb680, v86
	v_mul_f32_e32 v95, 0xbf4c4adb, v95
	v_fma_f32 v86, 0x3f6eb680, v91, -v86
	v_add_f32_e32 v27, v84, v27
	v_fmamk_f32 v84, v10, 0x3eb8f4ab, v186
	v_add_f32_e32 v83, v83, v92
	v_fmac_f32_e32 v186, 0xbeb8f4ab, v10
	v_fmamk_f32 v92, v91, 0xbf1a4643, v95
	v_add_f32_e32 v85, v86, v85
	v_sub_f32_e32 v86, v89, v80
	v_mul_f32_e32 v82, 0xbf1a4643, v82
	v_add_f32_e32 v87, v186, v87
	v_add_f32_e32 v92, v92, v94
	;; [unrolled: 1-line block ×3, first 2 shown]
	v_mul_f32_e32 v186, 0xbf4c4adb, v86
	v_add_f32_e32 v80, v89, v80
	v_fmac_f32_e32 v188, 0x3f7ee86f, v10
	v_add_f32_e32 v84, v84, v93
	v_fmamk_f32 v93, v10, 0x3f4c4adb, v82
	v_fma_f32 v89, 0xbf1a4643, v91, -v95
	v_fmac_f32_e32 v82, 0xbf4c4adb, v10
	v_sub_f32_e32 v10, v88, v79
	v_fmamk_f32 v79, v94, 0xbf1a4643, v186
	v_mul_f32_e32 v88, 0xbf1a4643, v80
	v_add_f32_e32 v6, v89, v6
	v_add_f32_e32 v7, v82, v7
	v_mul_f32_e32 v82, 0x3f763a35, v86
	v_add_f32_e32 v8, v79, v8
	v_fmamk_f32 v79, v10, 0x3f4c4adb, v88
	v_fma_f32 v89, 0xbf1a4643, v94, -v186
	v_fmac_f32_e32 v88, 0xbf4c4adb, v10
	v_mul_f32_e32 v91, 0xbe8c1d8e, v80
	v_add_f32_e32 v90, v93, v90
	v_add_f32_e32 v5, v79, v5
	v_fmamk_f32 v79, v94, 0xbe8c1d8e, v82
	v_add_f32_e32 v9, v89, v9
	v_add_f32_e32 v11, v88, v11
	v_fmamk_f32 v88, v10, 0xbf763a35, v91
	v_mul_f32_e32 v89, 0xbeb8f4ab, v86
	v_add_f32_e32 v12, v79, v12
	v_fma_f32 v79, 0xbe8c1d8e, v94, -v82
	v_mul_f32_e32 v93, 0xbf59a7d5, v80
	v_add_f32_e32 v16, v88, v16
	v_fmamk_f32 v82, v94, 0x3f6eb680, v89
	v_mul_f32_e32 v88, 0x3f6eb680, v80
	v_fmac_f32_e32 v91, 0x3f763a35, v10
	v_add_f32_e32 v4, v79, v4
	v_mul_f32_e32 v79, 0xbf06c442, v86
	v_add_f32_e32 v18, v82, v18
	v_fmamk_f32 v82, v10, 0x3eb8f4ab, v88
	v_fmac_f32_e32 v88, 0xbeb8f4ab, v10
	v_fma_f32 v89, 0x3f6eb680, v94, -v89
	v_add_f32_e32 v13, v91, v13
	v_fmamk_f32 v91, v94, 0xbf59a7d5, v79
	v_add_f32_e32 v19, v82, v19
	v_add_f32_e32 v17, v88, v17
	v_fmamk_f32 v82, v10, 0x3f06c442, v93
	v_mul_f32_e32 v88, 0x3f7ee86f, v86
	v_add_f32_e32 v15, v89, v15
	v_fma_f32 v79, 0xbf59a7d5, v94, -v79
	v_mul_f32_e32 v89, 0x3dbcf732, v80
	v_add_f32_e32 v24, v82, v24
	v_fmamk_f32 v82, v94, 0x3dbcf732, v88
	v_add_f32_e32 v68, v192, v68
	v_add_f32_e32 v22, v91, v22
	v_add_f32_e32 v14, v79, v14
	v_fmamk_f32 v79, v10, 0xbf7ee86f, v89
	v_mul_f32_e32 v91, 0xbf2c7751, v86
	v_add_f32_e32 v25, v82, v25
	v_fma_f32 v82, 0x3dbcf732, v94, -v88
	v_add_f32_e32 v68, v187, v68
	v_fmac_f32_e32 v93, 0xbf06c442, v10
	v_fmac_f32_e32 v89, 0x3f7ee86f, v10
	v_add_f32_e32 v21, v79, v21
	v_fmamk_f32 v79, v94, 0x3f3d2fb0, v91
	v_mul_f32_e32 v88, 0x3f3d2fb0, v80
	v_add_f32_e32 v23, v82, v23
	v_mul_f32_e32 v82, 0xbe3c28d5, v86
	v_add_f32_e32 v20, v93, v20
	v_add_f32_e32 v26, v89, v26
	;; [unrolled: 1-line block ×3, first 2 shown]
	v_fmamk_f32 v79, v10, 0x3f2c7751, v88
	v_fma_f32 v89, 0x3f3d2fb0, v94, -v91
	v_fmamk_f32 v91, v94, 0xbf7ba420, v82
	v_mul_f32_e32 v93, 0xbf7ba420, v80
	v_fma_f32 v82, 0xbf7ba420, v94, -v82
	v_add_f32_e32 v79, v79, v81
	v_add_f32_e32 v69, v188, v69
	;; [unrolled: 1-line block ×3, first 2 shown]
	v_fmamk_f32 v83, v10, 0x3e3c28d5, v93
	v_fmac_f32_e32 v93, 0xbe3c28d5, v10
	v_fmac_f32_e32 v88, 0xbf2c7751, v10
	v_mul_f32_e32 v86, 0x3f65296c, v86
	v_mul_f32_e32 v80, 0x3ee437d1, v80
	v_add_f32_e32 v82, v82, v85
	v_add_f32_e32 v85, v93, v87
	v_sub_f32_e32 v87, v76, v78
	v_add_f32_e32 v76, v76, v78
	v_add_f32_e32 v27, v89, v27
	;; [unrolled: 1-line block ×4, first 2 shown]
	v_fmamk_f32 v84, v94, 0x3ee437d1, v86
	v_fmamk_f32 v88, v10, 0xbf65296c, v80
	v_add_f32_e32 v89, v75, v77
	v_mul_f32_e32 v78, 0xbf06c442, v87
	v_fma_f32 v86, 0x3ee437d1, v94, -v86
	v_fmac_f32_e32 v80, 0x3f65296c, v10
	v_sub_f32_e32 v10, v75, v77
	v_mul_f32_e32 v75, 0xbf59a7d5, v76
	v_fmamk_f32 v77, v89, 0xbf59a7d5, v78
	v_add_f32_e32 v6, v86, v6
	v_add_f32_e32 v7, v80, v7
	v_mul_f32_e32 v80, 0x3f65296c, v87
	v_fmamk_f32 v86, v10, 0x3f06c442, v75
	v_add_f32_e32 v8, v77, v8
	v_fma_f32 v77, 0xbf59a7d5, v89, -v78
	v_fmac_f32_e32 v75, 0xbf06c442, v10
	v_fmamk_f32 v78, v89, 0x3ee437d1, v80
	v_add_f32_e32 v5, v86, v5
	v_mul_f32_e32 v86, 0x3ee437d1, v76
	v_add_f32_e32 v9, v77, v9
	v_add_f32_e32 v11, v75, v11
	;; [unrolled: 1-line block ×3, first 2 shown]
	v_mul_f32_e32 v75, 0xbf7ee86f, v87
	v_fmamk_f32 v77, v10, 0xbf65296c, v86
	v_fma_f32 v78, 0x3ee437d1, v89, -v80
	v_mul_f32_e32 v80, 0x3dbcf732, v76
	v_add_f32_e32 v88, v88, v90
	v_fmac_f32_e32 v86, 0x3f65296c, v10
	v_fmamk_f32 v90, v89, 0x3dbcf732, v75
	v_add_f32_e32 v16, v77, v16
	v_add_f32_e32 v77, v78, v4
	v_fmamk_f32 v4, v10, 0x3f7ee86f, v80
	v_mul_f32_e32 v78, 0x3f4c4adb, v87
	v_fma_f32 v75, 0x3dbcf732, v89, -v75
	v_add_f32_e32 v13, v86, v13
	v_fmac_f32_e32 v80, 0xbf7ee86f, v10
	v_add_f32_e32 v19, v4, v19
	v_mul_f32_e32 v4, 0xbf1a4643, v76
	v_fmamk_f32 v86, v89, 0xbf1a4643, v78
	v_add_f32_e32 v15, v75, v15
	v_mul_f32_e32 v75, 0xbeb8f4ab, v87
	v_add_f32_e32 v17, v80, v17
	v_fmamk_f32 v80, v10, 0xbf4c4adb, v4
	v_add_f32_e32 v22, v86, v22
	v_fmac_f32_e32 v4, 0x3f4c4adb, v10
	v_fmamk_f32 v86, v89, 0x3f6eb680, v75
	v_fma_f32 v75, 0x3f6eb680, v89, -v75
	v_add_f32_e32 v18, v90, v18
	v_fma_f32 v78, 0xbf1a4643, v89, -v78
	v_add_f32_e32 v20, v4, v20
	v_add_f32_e32 v25, v86, v25
	v_mul_f32_e32 v4, 0xbe3c28d5, v87
	v_mul_f32_e32 v86, 0xbf7ba420, v76
	v_add_f32_e32 v24, v80, v24
	v_mul_f32_e32 v80, 0x3f6eb680, v76
	v_add_f32_e32 v23, v75, v23
	v_fmamk_f32 v90, v89, 0xbf7ba420, v4
	v_fmamk_f32 v75, v10, 0x3e3c28d5, v86
	v_add_f32_e32 v14, v78, v14
	v_fmamk_f32 v78, v10, 0x3eb8f4ab, v80
	v_fma_f32 v4, 0xbf7ba420, v89, -v4
	v_add_f32_e32 v90, v90, v68
	v_mul_f32_e32 v68, 0x3f2c7751, v87
	v_fmac_f32_e32 v86, 0xbe3c28d5, v10
	v_add_f32_e32 v91, v75, v79
	v_mul_f32_e32 v75, 0x3f3d2fb0, v76
	v_add_f32_e32 v21, v78, v21
	v_fmamk_f32 v78, v89, 0x3f3d2fb0, v68
	v_add_f32_e32 v27, v4, v27
	v_add_f32_e32 v86, v86, v69
	v_mul_f32_e32 v4, 0xbf763a35, v87
	v_fmamk_f32 v69, v10, 0xbf2c7751, v75
	v_add_f32_e32 v84, v84, v92
	v_add_f32_e32 v87, v78, v81
	v_fma_f32 v68, 0x3f3d2fb0, v89, -v68
	v_fmamk_f32 v78, v89, 0xbe8c1d8e, v4
	v_add_f32_e32 v92, v69, v83
	v_mul_f32_e32 v69, 0xbe8c1d8e, v76
	v_sub_f32_e32 v186, v3, v74
	v_fma_f32 v4, 0xbe8c1d8e, v89, -v4
	v_add_f32_e32 v89, v3, v74
	v_fmac_f32_e32 v80, 0xbeb8f4ab, v10
	v_fmac_f32_e32 v75, 0x3f2c7751, v10
	v_add_f32_e32 v93, v68, v82
	v_fmamk_f32 v68, v10, 0x3f763a35, v69
	v_add_f32_e32 v187, v1, v73
	v_mul_f32_e32 v74, 0xbe3c28d5, v186
	v_fmac_f32_e32 v69, 0xbf763a35, v10
	v_sub_f32_e32 v1, v1, v73
	v_mul_f32_e32 v10, 0xbf7ba420, v89
	v_add_f32_e32 v188, v68, v88
	v_add_f32_e32 v189, v4, v6
	v_mul_f32_e32 v68, 0x3eb8f4ab, v186
	v_fma_f32 v6, 0xbf7ba420, v187, -v74
	v_fmamk_f32 v4, v1, 0x3e3c28d5, v10
	v_fmac_f32_e32 v10, 0xbe3c28d5, v1
	v_fmamk_f32 v3, v187, 0xbf7ba420, v74
	v_add_f32_e32 v190, v69, v7
	v_fmamk_f32 v7, v187, 0x3f6eb680, v68
	v_add_f32_e32 v4, v4, v5
	v_mul_f32_e32 v69, 0x3f6eb680, v89
	v_add_f32_e32 v5, v6, v9
	v_add_f32_e32 v6, v10, v11
	v_mul_f32_e32 v11, 0xbf06c442, v186
	v_add_f32_e32 v3, v3, v8
	v_add_f32_e32 v7, v7, v12
	v_fmamk_f32 v8, v1, 0xbeb8f4ab, v69
	v_fmac_f32_e32 v69, 0x3eb8f4ab, v1
	v_fmamk_f32 v12, v187, 0xbf59a7d5, v11
	v_mul_f32_e32 v74, 0xbf59a7d5, v89
	v_fma_f32 v9, 0x3f6eb680, v187, -v68
	v_add_f32_e32 v8, v8, v16
	v_add_f32_e32 v10, v69, v13
	;; [unrolled: 1-line block ×3, first 2 shown]
	v_fmamk_f32 v12, v1, 0x3f06c442, v74
	v_mul_f32_e32 v13, 0x3f2c7751, v186
	v_fma_f32 v11, 0xbf59a7d5, v187, -v11
	v_mul_f32_e32 v16, 0x3f3d2fb0, v89
	v_add_f32_e32 v94, v75, v85
	v_add_f32_e32 v69, v12, v19
	v_fmamk_f32 v12, v187, 0x3f3d2fb0, v13
	v_add_f32_e32 v73, v11, v15
	v_fmamk_f32 v11, v1, 0xbf2c7751, v16
	v_mul_f32_e32 v15, 0xbf4c4adb, v186
	v_fmac_f32_e32 v16, 0x3f2c7751, v1
	v_add_f32_e32 v75, v12, v22
	v_fma_f32 v12, 0x3f3d2fb0, v187, -v13
	v_add_f32_e32 v76, v11, v24
	v_fmamk_f32 v11, v187, 0xbf1a4643, v15
	v_mul_f32_e32 v13, 0xbf1a4643, v89
	v_add_f32_e32 v26, v80, v26
	v_add_f32_e32 v95, v78, v84
	;; [unrolled: 1-line block ×4, first 2 shown]
	v_fmamk_f32 v11, v1, 0x3f4c4adb, v13
	v_fmac_f32_e32 v13, 0xbf4c4adb, v1
	v_mul_f32_e32 v16, 0x3ee437d1, v89
	v_add_f32_e32 v9, v9, v77
	v_add_f32_e32 v77, v12, v14
	v_mul_f32_e32 v12, 0x3f65296c, v186
	v_fma_f32 v14, 0xbf1a4643, v187, -v15
	v_add_f32_e32 v80, v11, v21
	v_add_f32_e32 v82, v13, v26
	v_fmamk_f32 v11, v1, 0xbf65296c, v16
	v_mul_f32_e32 v13, 0xbf763a35, v186
	v_fmamk_f32 v15, v187, 0x3ee437d1, v12
	v_add_f32_e32 v81, v14, v23
	v_fma_f32 v12, 0x3ee437d1, v187, -v12
	v_mul_f32_e32 v14, 0xbe8c1d8e, v89
	v_add_f32_e32 v84, v11, v91
	v_fmamk_f32 v11, v187, 0xbe8c1d8e, v13
	v_add_f32_e32 v83, v15, v90
	v_add_f32_e32 v85, v12, v27
	v_fmamk_f32 v12, v1, 0x3f763a35, v14
	v_fma_f32 v13, 0xbe8c1d8e, v187, -v13
	v_add_f32_e32 v87, v11, v87
	v_mul_f32_e32 v11, 0x3f7ee86f, v186
	v_mul_f32_e32 v15, 0x3dbcf732, v89
	v_add_nc_u32_e32 v214, 0x110, v255
	v_add_nc_u32_e32 v207, 0x198, v255
	v_add_nc_u32_e32 v206, 0x220, v255
	v_add_nc_u32_e32 v72, 0x2a8, v255
	v_add_nc_u32_e32 v71, 0x330, v255
	v_fmac_f32_e32 v74, 0xbf06c442, v1
	v_fmac_f32_e32 v16, 0x3f65296c, v1
	v_add_f32_e32 v88, v12, v92
	v_add_f32_e32 v89, v13, v93
	v_fmac_f32_e32 v14, 0xbf763a35, v1
	v_fmamk_f32 v12, v187, 0x3dbcf732, v11
	v_fmamk_f32 v13, v1, 0xbf7ee86f, v15
	v_fma_f32 v11, 0x3dbcf732, v187, -v11
	v_fmac_f32_e32 v15, 0x3f7ee86f, v1
	v_add_f32_e32 v74, v74, v17
	v_add_f32_e32 v86, v16, v86
	v_add_f32_e32 v90, v14, v94
	v_add_f32_e32 v91, v12, v95
	v_add_f32_e32 v92, v13, v188
	v_add_f32_e32 v93, v11, v189
	v_add_f32_e32 v94, v15, v190
	s_barrier
	buffer_gl0_inv
	ds_write2_b64 v2, v[32:33], v[38:39] offset1:7
	ds_write2_b64 v2, v[40:41], v[46:47] offset0:14 offset1:21
	ds_write2_b64 v2, v[48:49], v[52:53] offset0:28 offset1:35
	;; [unrolled: 1-line block ×7, first 2 shown]
	ds_write_b64 v2, v[34:35] offset:896
	ds_write2_b64 v0, v[66:67], v[3:4] offset1:7
	ds_write2_b64 v0, v[7:8], v[68:69] offset0:14 offset1:21
	ds_write2_b64 v0, v[75:76], v[79:80] offset0:28 offset1:35
	;; [unrolled: 1-line block ×7, first 2 shown]
	ds_write_b64 v0, v[5:6] offset:896
	s_and_saveexec_b32 s0, vcc_lo
	s_cbranch_execz .LBB0_9
; %bb.8:
	s_clause 0x7
	buffer_load_dword v2, off, s[20:23], 0 offset:400
	buffer_load_dword v3, off, s[20:23], 0 offset:404
	;; [unrolled: 1-line block ×8, first 2 shown]
	v_mul_f32_e32 v0, v31, v104
	v_mul_f32_e32 v34, v31, v105
	;; [unrolled: 1-line block ×3, first 2 shown]
	v_mov_b32_e32 v72, v207
	v_mov_b32_e32 v71, v206
	v_fma_f32 v35, v30, v105, -v0
	v_fmac_f32_e32 v34, v30, v104
	v_mul_f32_e32 v0, v29, v102
	v_fmac_f32_e32 v38, v28, v102
	v_fma_f32 v37, v28, v103, -v0
	s_waitcnt vmcnt(6)
	v_mul_f32_e32 v1, v3, v98
	v_mul_f32_e32 v41, v3, v99
	s_waitcnt vmcnt(4)
	v_mul_f32_e32 v45, v5, v101
	s_waitcnt vmcnt(0)
	v_mul_f32_e32 v0, v12, v112
	v_mul_f32_e32 v17, v12, v113
	v_fma_f32 v42, v2, v99, -v1
	v_fmac_f32_e32 v41, v2, v98
	v_mul_f32_e32 v1, v5, v100
	s_clause 0x3
	buffer_load_dword v5, off, s[20:23], 0 offset:676
	buffer_load_dword v6, off, s[20:23], 0 offset:680
	;; [unrolled: 1-line block ×4, first 2 shown]
	v_fma_f32 v43, v11, v113, -v0
	v_add_f32_e32 v86, v35, v42
	v_sub_f32_e32 v30, v41, v34
	v_fmac_f32_e32 v17, v11, v112
	v_mul_f32_e32 v52, v10, v111
	s_clause 0x3
	buffer_load_dword v20, off, s[20:23], 0 offset:692
	buffer_load_dword v21, off, s[20:23], 0 offset:696
	;; [unrolled: 1-line block ×4, first 2 shown]
	v_mul_f32_e32 v36, 0xbf7ba420, v86
	v_fma_f32 v46, v4, v101, -v1
	v_fmac_f32_e32 v45, v4, v100
	v_fmac_f32_e32 v52, v9, v110
	v_sub_f32_e32 v205, v42, v35
	v_fmamk_f32 v2, v30, 0x3e3c28d5, v36
	v_add_f32_e32 v103, v37, v46
	v_sub_f32_e32 v27, v45, v38
	v_sub_f32_e32 v209, v46, v37
	v_mul_f32_e32 v75, 0xbe3c28d5, v205
	v_add_f32_e32 v0, v97, v2
	v_mul_f32_e32 v2, v10, v110
	s_clause 0x3
	buffer_load_dword v10, off, s[20:23], 0 offset:660
	buffer_load_dword v11, off, s[20:23], 0 offset:664
	;; [unrolled: 1-line block ×4, first 2 shown]
	v_mul_f32_e32 v39, 0x3f6eb680, v103
	v_mul_f32_e32 v83, 0x3eb8f4ab, v209
	;; [unrolled: 1-line block ×3, first 2 shown]
	v_fma_f32 v16, v9, v111, -v2
	v_mul_f32_e32 v65, 0x3ee437d1, v103
	v_mul_f32_e32 v95, 0xbf06c442, v205
	;; [unrolled: 1-line block ×10, first 2 shown]
	v_add_f32_e32 v42, v42, v97
	v_mul_f32_e32 v218, 0xbf7ba420, v103
	v_mul_f32_e32 v210, 0xbf7ee86f, v205
	;; [unrolled: 1-line block ×3, first 2 shown]
	v_fmac_f32_e32 v36, 0xbe3c28d5, v30
	v_add_f32_e32 v42, v46, v42
	v_mul_f32_e32 v237, 0x3ee437d1, v86
	v_mul_f32_e32 v235, 0xbf1a4643, v103
	;; [unrolled: 1-line block ×9, first 2 shown]
	s_waitcnt vmcnt(8)
	v_mul_f32_e32 v3, v8, v108
	v_mul_f32_e32 v1, v6, v106
	;; [unrolled: 1-line block ×4, first 2 shown]
	v_fma_f32 v53, v7, v109, -v3
	v_fma_f32 v48, v5, v107, -v1
	v_fmac_f32_e32 v49, v5, v106
	v_fmac_f32_e32 v54, v7, v108
	s_waitcnt vmcnt(4)
	v_mul_f32_e32 v2, v23, v120
	v_fmamk_f32 v1, v27, 0xbeb8f4ab, v39
	v_add_f32_e32 v105, v43, v48
	v_sub_f32_e32 v26, v49, v17
	v_add_f32_e32 v186, v16, v53
	v_fma_f32 v55, v22, v121, -v2
	v_mul_f32_e32 v56, v23, v121
	v_mul_f32_e32 v40, 0xbf59a7d5, v105
	;; [unrolled: 1-line block ×3, first 2 shown]
	v_add_f32_e32 v0, v1, v0
	s_waitcnt vmcnt(2)
	v_mul_f32_e32 v3, v11, v114
	v_mul_f32_e32 v60, v11, v115
	v_fmamk_f32 v1, v26, 0x3f06c442, v40
	v_mul_f32_e32 v47, 0x3f3d2fb0, v186
	v_sub_f32_e32 v18, v54, v52
	v_fma_f32 v58, v10, v115, -v3
	v_fmac_f32_e32 v60, v10, v114
	s_clause 0x7
	buffer_load_dword v8, off, s[20:23], 0 offset:644
	buffer_load_dword v9, off, s[20:23], 0 offset:648
	;; [unrolled: 1-line block ×8, first 2 shown]
	s_waitcnt vmcnt(8)
	v_mul_f32_e32 v3, v13, v116
	v_add_f32_e32 v187, v55, v58
	v_fmac_f32_e32 v56, v22, v120
	v_fma_f32 v62, v20, v119, -v2
	v_mul_f32_e32 v76, v13, v117
	v_fma_f32 v74, v12, v117, -v3
	v_mul_f32_e32 v66, v21, v119
	v_add_f32_e32 v0, v1, v0
	v_fmamk_f32 v1, v18, 0xbf2c7751, v47
	v_mul_f32_e32 v44, 0xbf1a4643, v187
	v_sub_f32_e32 v19, v60, v56
	v_add_f32_e32 v195, v62, v74
	v_fmac_f32_e32 v76, v12, v116
	v_fmac_f32_e32 v66, v20, v118
	v_add_f32_e32 v0, v1, v0
	v_fmamk_f32 v1, v19, 0x3f4c4adb, v44
	v_mul_f32_e32 v51, 0x3ee437d1, v195
	v_add_f32_e32 v22, v34, v41
	v_sub_f32_e32 v20, v76, v66
	v_add_f32_e32 v23, v38, v45
	v_add_f32_e32 v0, v1, v0
	v_sub_f32_e32 v204, v48, v43
	v_add_f32_e32 v25, v17, v49
	v_fmamk_f32 v1, v20, 0xbf65296c, v51
	v_sub_f32_e32 v207, v53, v16
	v_add_f32_e32 v28, v52, v54
	v_mul_f32_e32 v77, 0xbf06c442, v204
	v_sub_f32_e32 v208, v58, v55
	v_add_f32_e32 v0, v1, v0
	v_mul_f32_e32 v78, 0x3f2c7751, v207
	v_add_f32_e32 v29, v56, v60
	v_sub_f32_e32 v214, v74, v62
	v_mul_f32_e32 v79, 0xbf4c4adb, v208
	v_add_f32_e32 v31, v66, v76
	v_mul_f32_e32 v73, 0x3dbcf732, v105
	v_mul_f32_e32 v80, 0xbf1a4643, v186
	;; [unrolled: 1-line block ×23, first 2 shown]
	v_add_f32_e32 v41, v96, v41
	v_mul_f32_e32 v215, 0xbe8c1d8e, v105
	v_add_f32_e32 v42, v48, v42
	v_mul_f32_e32 v202, 0x3f6eb680, v186
	v_mul_f32_e32 v200, 0x3ee437d1, v187
	v_add_f32_e32 v41, v45, v41
	v_mul_f32_e32 v198, 0xbf59a7d5, v195
	v_add_f32_e32 v42, v53, v42
	v_mul_f32_e32 v211, 0x3f763a35, v204
	v_mul_f32_e32 v212, 0x3eb8f4ab, v207
	v_add_f32_e32 v41, v49, v41
	v_mul_f32_e32 v213, 0xbf65296c, v208
	v_add_f32_e32 v42, v58, v42
	v_mul_f32_e32 v201, 0xbf06c442, v214
	v_fmac_f32_e32 v39, 0x3eb8f4ab, v27
	v_add_f32_e32 v41, v54, v41
	v_fmac_f32_e32 v40, 0xbf06c442, v26
	v_add_f32_e32 v42, v74, v42
	v_mul_f32_e32 v225, 0xbf7ba420, v105
	v_fmac_f32_e32 v47, 0x3f2c7751, v18
	v_add_f32_e32 v41, v60, v41
	v_mul_f32_e32 v224, 0xbe8c1d8e, v186
	v_fmac_f32_e32 v44, 0xbf4c4adb, v19
	v_mul_f32_e32 v220, 0x3f3d2fb0, v187
	v_fmac_f32_e32 v51, 0x3f65296c, v20
	v_add_f32_e32 v41, v76, v41
	v_mul_f32_e32 v217, 0x3f6eb680, v195
	v_fmamk_f32 v12, v23, 0xbf1a4643, v228
	v_mul_f32_e32 v226, 0x3e3c28d5, v204
	v_mul_f32_e32 v229, 0x3f763a35, v207
	v_mul_f32_e32 v230, 0x3f2c7751, v208
	v_mul_f32_e32 v232, 0xbeb8f4ab, v214
	v_fmamk_f32 v13, v27, 0x3f7ee86f, v251
	v_mul_f32_e32 v249, 0xbf1a4643, v105
	v_mul_f32_e32 v248, 0xbf7ba420, v186
	v_mul_f32_e32 v247, 0xbf59a7d5, v187
	;; [unrolled: 5-line block ×3, first 2 shown]
	v_mul_f32_e32 v240, 0x3f763a35, v214
	v_fma_f32 v45, 0xbf7ba420, v23, -v206
	v_fma_f32 v46, 0xbe8c1d8e, v25, -v211
	v_mul_f32_e32 v253, 0x3ee437d1, v105
	v_mul_f32_e32 v105, 0x3dbcf732, v186
	v_fmac_f32_e32 v251, 0xbf7ee86f, v27
	v_fma_f32 v49, 0x3f6eb680, v31, -v232
	s_waitcnt vmcnt(4)
	v_mul_f32_e32 v2, v11, v156
	s_waitcnt vmcnt(2)
	v_mul_f32_e32 v3, v5, v150
	v_mul_f32_e32 v93, v5, v151
	v_mul_f32_e32 v89, v11, v157
	v_fmamk_f32 v11, v27, 0x3f4c4adb, v235
	v_fma_f32 v85, v10, v157, -v2
	v_fma_f32 v91, v4, v151, -v3
	v_fmac_f32_e32 v93, v4, v150
	v_fmac_f32_e32 v89, v10, v156
	s_waitcnt vmcnt(0)
	v_mul_f32_e32 v2, v7, v152
	v_fmamk_f32 v3, v22, 0xbf7ba420, v75
	v_add_f32_e32 v14, v85, v91
	v_mul_f32_e32 v150, v7, v153
	v_sub_f32_e32 v21, v93, v89
	v_fma_f32 v119, v6, v153, -v2
	v_fmamk_f32 v2, v23, 0x3f6eb680, v83
	v_mul_f32_e32 v50, 0xbe8c1d8e, v14
	v_fmac_f32_e32 v150, v6, v152
	v_mul_f32_e32 v152, v9, v155
	v_sub_f32_e32 v221, v91, v85
	v_add_f32_e32 v32, v89, v93
	v_fmamk_f32 v1, v21, 0x3f763a35, v50
	v_fmamk_f32 v4, v27, 0xbf65296c, v65
	v_fmac_f32_e32 v152, v8, v154
	v_mul_f32_e32 v87, 0xbf763a35, v221
	v_mul_f32_e32 v81, 0x3f3d2fb0, v14
	v_add_f32_e32 v0, v1, v0
	v_mul_f32_e32 v1, v9, v154
	v_sub_f32_e32 v24, v150, v152
	v_fmamk_f32 v6, v32, 0xbe8c1d8e, v87
	v_add_f32_e32 v33, v152, v150
	v_fmamk_f32 v7, v27, 0xbf763a35, v64
	v_fma_f32 v117, v8, v155, -v1
	v_add_f32_e32 v1, v96, v3
	v_fmamk_f32 v3, v31, 0x3ee437d1, v99
	v_fmamk_f32 v8, v22, 0xbf1a4643, v94
	v_mul_f32_e32 v107, 0x3f2c7751, v221
	v_add_f32_e32 v15, v117, v119
	v_add_f32_e32 v1, v2, v1
	v_fmamk_f32 v2, v25, 0xbf59a7d5, v77
	v_sub_f32_e32 v222, v119, v117
	v_fmamk_f32 v9, v32, 0x3f3d2fb0, v107
	v_mul_f32_e32 v57, 0x3dbcf732, v15
	v_mul_f32_e32 v59, 0xbe8c1d8e, v15
	v_add_f32_e32 v1, v2, v1
	v_fmamk_f32 v2, v28, 0x3f3d2fb0, v78
	v_mul_f32_e32 v100, 0x3f7ee86f, v222
	v_fmamk_f32 v5, v24, 0xbf7ee86f, v57
	v_mul_f32_e32 v189, 0xbf763a35, v222
	v_mul_f32_e32 v121, 0xbf7ba420, v14
	v_add_f32_e32 v1, v2, v1
	v_fmamk_f32 v2, v29, 0xbf1a4643, v79
	v_mul_f32_e32 v112, 0xbe3c28d5, v221
	v_mul_f32_e32 v106, 0x3ee437d1, v15
	;; [unrolled: 1-line block ×4, first 2 shown]
	v_add_f32_e32 v1, v2, v1
	v_fmamk_f32 v2, v30, 0x3f06c442, v63
	v_mul_f32_e32 v157, 0xbf59a7d5, v103
	v_mul_f32_e32 v153, 0x3ee437d1, v186
	;; [unrolled: 1-line block ×3, first 2 shown]
	v_add_f32_e32 v3, v3, v1
	v_add_f32_e32 v2, v97, v2
	;; [unrolled: 1-line block ×3, first 2 shown]
	v_fmamk_f32 v5, v22, 0xbf59a7d5, v95
	v_mul_f32_e32 v154, 0x3f2c7751, v204
	v_add_f32_e32 v0, v6, v3
	v_add_f32_e32 v2, v4, v2
	v_fmamk_f32 v4, v26, 0x3f7ee86f, v73
	v_fmamk_f32 v3, v18, 0xbf4c4adb, v80
	v_add_f32_e32 v5, v96, v5
	v_fmamk_f32 v6, v23, 0x3ee437d1, v101
	v_mul_f32_e32 v151, 0xbeb8f4ab, v221
	v_add_f32_e32 v2, v4, v2
	v_fmamk_f32 v4, v33, 0x3dbcf732, v100
	v_mul_f32_e32 v196, 0xbf1a4643, v15
	v_mul_f32_e32 v155, 0xbf4c4adb, v222
	v_add_f32_e32 v42, v91, v42
	v_add_f32_e32 v2, v3, v2
	v_fmamk_f32 v3, v19, 0x3eb8f4ab, v84
	v_add_f32_e32 v0, v4, v0
	v_add_f32_e32 v4, v6, v5
	v_fmamk_f32 v5, v25, 0x3dbcf732, v92
	v_fmamk_f32 v6, v30, 0x3f4c4adb, v61
	v_add_f32_e32 v2, v3, v2
	v_fmamk_f32 v3, v20, 0x3e3c28d5, v82
	v_add_f32_e32 v41, v93, v41
	v_add_f32_e32 v42, v119, v42
	;; [unrolled: 1-line block ×3, first 2 shown]
	v_fmamk_f32 v10, v23, 0xbf7ba420, v206
	v_add_f32_e32 v2, v3, v2
	v_fmamk_f32 v3, v21, 0xbf2c7751, v81
	v_mul_f32_e32 v199, 0xbf1a4643, v14
	v_add_f32_e32 v6, v7, v6
	v_fmamk_f32 v7, v26, 0x3eb8f4ab, v67
	v_add_f32_e32 v41, v150, v41
	v_add_f32_e32 v2, v3, v2
	;; [unrolled: 1-line block ×3, first 2 shown]
	v_fmamk_f32 v4, v28, 0xbf1a4643, v88
	v_fmamk_f32 v5, v24, 0x3f763a35, v59
	v_add_f32_e32 v6, v7, v6
	v_fmamk_f32 v7, v18, 0x3f06c442, v98
	v_add_f32_e32 v42, v117, v42
	v_add_f32_e32 v3, v4, v3
	v_fmamk_f32 v4, v29, 0x3f6eb680, v104
	v_add_f32_e32 v41, v152, v41
	;; [unrolled: 3-line block ×5, first 2 shown]
	v_add_f32_e32 v4, v4, v3
	v_add_f32_e32 v3, v5, v2
	;; [unrolled: 1-line block ×3, first 2 shown]
	v_fmamk_f32 v5, v23, 0xbe8c1d8e, v102
	v_fmamk_f32 v8, v33, 0xbe8c1d8e, v189
	v_add_f32_e32 v4, v9, v4
	v_fmamk_f32 v9, v31, 0x3f3d2fb0, v118
	v_add_f32_e32 v41, v66, v41
	v_add_f32_e32 v2, v5, v2
	v_fmamk_f32 v5, v25, 0x3f6eb680, v108
	v_add_f32_e32 v42, v55, v42
	v_mul_f32_e32 v203, 0x3f4c4adb, v221
	v_add_f32_e32 v41, v56, v41
	v_mul_f32_e32 v223, 0x3f3d2fb0, v15
	v_add_f32_e32 v2, v5, v2
	v_fmamk_f32 v5, v28, 0xbf59a7d5, v111
	v_add_f32_e32 v16, v16, v42
	v_add_f32_e32 v41, v52, v41
	v_mul_f32_e32 v197, 0x3f2c7751, v222
	v_fmac_f32_e32 v50, 0xbf763a35, v21
	v_add_f32_e32 v2, v5, v2
	v_fmamk_f32 v5, v29, 0x3dbcf732, v114
	v_add_f32_e32 v16, v43, v16
	v_add_f32_e32 v17, v17, v41
	v_fmac_f32_e32 v57, 0x3f7ee86f, v24
	v_fmac_f32_e32 v63, 0xbf06c442, v30
	v_add_f32_e32 v5, v5, v2
	v_add_f32_e32 v2, v8, v4
	;; [unrolled: 1-line block ×3, first 2 shown]
	v_fmamk_f32 v6, v21, 0x3e3c28d5, v121
	v_fmamk_f32 v7, v32, 0xbf7ba420, v112
	v_add_f32_e32 v5, v9, v5
	v_fmamk_f32 v8, v23, 0xbf59a7d5, v193
	v_fmamk_f32 v9, v27, 0x3e3c28d5, v218
	v_add_f32_e32 v4, v6, v4
	v_add_f32_e32 v16, v37, v16
	;; [unrolled: 1-line block ×3, first 2 shown]
	v_fmamk_f32 v5, v24, 0xbf65296c, v106
	v_fmamk_f32 v7, v33, 0x3ee437d1, v109
	v_add_f32_e32 v37, v38, v17
	v_add_f32_e32 v17, v35, v16
	v_fma_f32 v35, 0xbf7ba420, v22, -v75
	v_add_f32_e32 v5, v5, v4
	v_add_f32_e32 v4, v7, v6
	v_fmamk_f32 v6, v30, 0x3f763a35, v156
	v_fmamk_f32 v7, v27, 0xbf06c442, v157
	v_add_f32_e32 v16, v34, v37
	v_add_f32_e32 v34, v97, v36
	v_add_f32_e32 v35, v96, v35
	v_add_f32_e32 v6, v97, v6
	v_fma_f32 v36, 0x3f6eb680, v23, -v83
	v_fma_f32 v37, 0x3dbcf732, v33, -v100
	v_add_f32_e32 v34, v39, v34
	v_mul_f32_e32 v216, 0x3dbcf732, v14
	v_add_f32_e32 v6, v7, v6
	v_fmamk_f32 v7, v26, 0xbf2c7751, v188
	v_add_f32_e32 v35, v36, v35
	v_fma_f32 v36, 0xbf59a7d5, v25, -v77
	v_add_f32_e32 v34, v40, v34
	v_fmac_f32_e32 v65, 0x3f65296c, v27
	v_add_f32_e32 v6, v7, v6
	v_fmamk_f32 v7, v18, 0x3f65296c, v153
	v_add_f32_e32 v35, v36, v35
	v_fma_f32 v36, 0x3f3d2fb0, v28, -v78
	v_add_f32_e32 v34, v47, v34
	v_fma_f32 v38, 0x3ee437d1, v23, -v101
	v_add_f32_e32 v6, v7, v6
	v_fmamk_f32 v7, v19, 0x3e3c28d5, v116
	v_add_f32_e32 v35, v36, v35
	v_fma_f32 v36, 0xbf1a4643, v29, -v79
	v_add_f32_e32 v34, v44, v34
	v_fmac_f32_e32 v73, 0xbf7ee86f, v26
	v_add_f32_e32 v6, v7, v6
	v_fmamk_f32 v7, v20, 0xbf7ee86f, v113
	v_add_f32_e32 v35, v36, v35
	v_fma_f32 v36, 0x3ee437d1, v31, -v99
	v_add_f32_e32 v34, v51, v34
	v_fmac_f32_e32 v80, 0x3f4c4adb, v18
	;; [unrolled: 6-line block ×3, first 2 shown]
	v_add_f32_e32 v7, v96, v7
	v_fmac_f32_e32 v82, 0xbe3c28d5, v20
	v_add_f32_e32 v36, v36, v35
	v_add_f32_e32 v35, v57, v34
	v_mul_f32_e32 v233, 0xbf7ee86f, v221
	v_add_f32_e32 v7, v8, v7
	v_fmamk_f32 v8, v21, 0x3eb8f4ab, v115
	v_add_f32_e32 v34, v37, v36
	v_fma_f32 v37, 0xbf59a7d5, v22, -v95
	v_add_f32_e32 v36, v97, v63
	v_fmac_f32_e32 v81, 0x3f2c7751, v21
	v_add_f32_e32 v6, v8, v6
	v_fmamk_f32 v8, v25, 0x3f3d2fb0, v154
	v_add_f32_e32 v37, v96, v37
	v_add_f32_e32 v36, v65, v36
	v_mul_f32_e32 v227, 0xbf59a7d5, v15
	v_fmac_f32_e32 v59, 0xbf763a35, v24
	v_add_f32_e32 v7, v8, v7
	v_fmamk_f32 v8, v28, 0x3ee437d1, v190
	v_add_f32_e32 v37, v38, v37
	v_fma_f32 v38, 0x3dbcf732, v25, -v92
	v_add_f32_e32 v36, v73, v36
	v_fma_f32 v39, 0xbe8c1d8e, v33, -v189
	v_add_f32_e32 v7, v8, v7
	v_fmamk_f32 v8, v29, 0xbf7ba420, v191
	v_add_f32_e32 v37, v38, v37
	v_fma_f32 v38, 0xbf1a4643, v28, -v88
	v_add_f32_e32 v36, v80, v36
	v_mul_f32_e32 v234, 0xbf06c442, v222
	v_add_f32_e32 v7, v8, v7
	v_fmamk_f32 v8, v31, 0x3dbcf732, v192
	v_add_f32_e32 v37, v38, v37
	v_fma_f32 v38, 0x3f6eb680, v29, -v104
	v_add_f32_e32 v36, v84, v36
	v_fma_f32 v40, 0xbe8c1d8e, v23, -v102
	v_add_f32_e32 v7, v8, v7
	v_fmamk_f32 v8, v32, 0x3f6eb680, v151
	v_add_f32_e32 v37, v38, v37
	v_fma_f32 v38, 0xbf7ba420, v31, -v90
	v_add_f32_e32 v36, v82, v36
	v_fmac_f32_e32 v61, 0xbf4c4adb, v30
	v_add_f32_e32 v8, v8, v7
	v_fmamk_f32 v7, v24, 0x3f4c4adb, v196
	v_add_f32_e32 v37, v38, v37
	v_fma_f32 v38, 0x3f3d2fb0, v32, -v107
	v_add_f32_e32 v36, v81, v36
	v_fmac_f32_e32 v64, 0x3f763a35, v27
	v_add_f32_e32 v7, v7, v6
	v_fmamk_f32 v6, v33, 0xbf1a4643, v155
	v_add_f32_e32 v38, v38, v37
	v_add_f32_e32 v37, v59, v36
	v_fmac_f32_e32 v67, 0xbeb8f4ab, v26
	v_fmac_f32_e32 v156, 0xbf763a35, v30
	v_add_f32_e32 v6, v6, v8
	v_fmamk_f32 v8, v30, 0x3f7ee86f, v219
	v_add_f32_e32 v36, v39, v38
	v_fma_f32 v39, 0xbf1a4643, v22, -v94
	v_add_f32_e32 v38, v97, v61
	v_fmac_f32_e32 v98, 0xbf06c442, v18
	v_add_f32_e32 v8, v97, v8
	v_fmac_f32_e32 v157, 0x3f06c442, v27
	v_add_f32_e32 v39, v96, v39
	v_add_f32_e32 v38, v64, v38
	v_fmac_f32_e32 v110, 0x3f7ee86f, v19
	v_add_f32_e32 v8, v9, v8
	v_fmamk_f32 v9, v26, 0xbf763a35, v215
	v_add_f32_e32 v39, v40, v39
	v_fma_f32 v40, 0x3f6eb680, v25, -v108
	v_add_f32_e32 v38, v67, v38
	v_fmac_f32_e32 v188, 0x3f2c7751, v26
	v_add_f32_e32 v8, v9, v8
	v_fmamk_f32 v9, v18, 0xbeb8f4ab, v202
	v_add_f32_e32 v39, v40, v39
	v_fma_f32 v40, 0xbf59a7d5, v28, -v111
	v_add_f32_e32 v38, v98, v38
	v_mul_f32_e32 v245, 0x3ee437d1, v14
	v_add_f32_e32 v8, v9, v8
	v_fmamk_f32 v9, v19, 0x3f65296c, v200
	v_add_f32_e32 v39, v40, v39
	v_fma_f32 v40, 0x3dbcf732, v29, -v114
	v_add_f32_e32 v38, v110, v38
	v_fmac_f32_e32 v120, 0xbf2c7751, v20
	v_add_f32_e32 v8, v9, v8
	v_fmamk_f32 v9, v20, 0x3f06c442, v198
	v_add_f32_e32 v39, v40, v39
	v_fma_f32 v40, 0x3f3d2fb0, v31, -v118
	v_add_f32_e32 v38, v120, v38
	v_fmac_f32_e32 v121, 0xbe3c28d5, v21
	v_add_f32_e32 v8, v9, v8
	v_fmamk_f32 v9, v22, 0x3dbcf732, v210
	v_add_f32_e32 v39, v40, v39
	v_fma_f32 v40, 0xbf7ba420, v32, -v112
	v_fmac_f32_e32 v153, 0xbf65296c, v18
	v_fma_f32 v43, 0xbf59a7d5, v23, -v193
	v_add_f32_e32 v9, v96, v9
	v_add_f32_e32 v38, v121, v38
	;; [unrolled: 1-line block ×4, first 2 shown]
	v_fmac_f32_e32 v106, 0x3f65296c, v24
	v_add_f32_e32 v9, v10, v9
	v_fmamk_f32 v10, v21, 0xbf4c4adb, v199
	v_fma_f32 v44, 0x3ee437d1, v33, -v109
	v_add_f32_e32 v39, v157, v39
	v_fmac_f32_e32 v116, 0xbe3c28d5, v19
	v_fmac_f32_e32 v219, 0xbf7ee86f, v30
	v_add_f32_e32 v8, v10, v8
	v_fmamk_f32 v10, v25, 0xbe8c1d8e, v211
	v_add_f32_e32 v41, v188, v39
	v_fma_f32 v39, 0xbe8c1d8e, v22, -v194
	v_fmac_f32_e32 v113, 0x3f7ee86f, v20
	v_fmac_f32_e32 v218, 0xbe3c28d5, v27
	v_add_f32_e32 v9, v10, v9
	v_fmamk_f32 v10, v28, 0x3f6eb680, v212
	v_add_f32_e32 v42, v96, v39
	v_add_f32_e32 v41, v153, v41
	;; [unrolled: 1-line block ×5, first 2 shown]
	v_fmamk_f32 v10, v29, 0x3ee437d1, v213
	v_add_f32_e32 v42, v43, v42
	v_fma_f32 v43, 0x3f3d2fb0, v25, -v154
	v_add_f32_e32 v40, v116, v41
	v_fmac_f32_e32 v115, 0xbeb8f4ab, v21
	v_add_f32_e32 v9, v10, v9
	v_fmamk_f32 v10, v31, 0xbf59a7d5, v201
	v_add_f32_e32 v41, v43, v42
	v_fma_f32 v42, 0x3ee437d1, v28, -v190
	v_add_f32_e32 v43, v97, v219
	v_add_f32_e32 v40, v113, v40
	;; [unrolled: 1-line block ×3, first 2 shown]
	v_fmamk_f32 v10, v32, 0xbf1a4643, v203
	v_add_f32_e32 v41, v42, v41
	v_fma_f32 v42, 0xbf7ba420, v29, -v191
	v_add_f32_e32 v43, v218, v43
	v_fmac_f32_e32 v215, 0x3f763a35, v26
	v_add_f32_e32 v10, v10, v9
	v_fmamk_f32 v9, v24, 0xbf2c7751, v223
	v_mul_f32_e32 v241, 0x3f65296c, v221
	v_add_f32_e32 v40, v115, v40
	v_fmac_f32_e32 v196, 0xbf4c4adb, v24
	v_add_f32_e32 v42, v42, v41
	v_add_f32_e32 v9, v9, v8
	v_fmamk_f32 v8, v33, 0x3f3d2fb0, v197
	v_fma_f32 v44, 0x3dbcf732, v31, -v192
	v_add_f32_e32 v43, v215, v43
	v_fmac_f32_e32 v202, 0x3eb8f4ab, v18
	v_mul_f32_e32 v242, 0x3f6eb680, v15
	v_add_f32_e32 v8, v8, v10
	v_fmamk_f32 v10, v30, 0x3f65296c, v237
	v_add_f32_e32 v41, v196, v40
	v_fma_f32 v40, 0x3dbcf732, v22, -v210
	v_add_f32_e32 v42, v44, v42
	v_fma_f32 v44, 0x3f6eb680, v32, -v151
	v_add_f32_e32 v10, v97, v10
	v_add_f32_e32 v43, v202, v43
	v_fmac_f32_e32 v200, 0xbf65296c, v19
	v_mul_f32_e32 v250, 0x3eb8f4ab, v222
	v_add_f32_e32 v40, v96, v40
	v_add_f32_e32 v10, v11, v10
	v_fmamk_f32 v11, v26, 0xbe3c28d5, v225
	v_add_f32_e32 v42, v44, v42
	v_fma_f32 v44, 0xbf1a4643, v33, -v155
	v_add_f32_e32 v43, v200, v43
	v_fmac_f32_e32 v198, 0xbf06c442, v20
	v_add_f32_e32 v10, v11, v10
	v_fmamk_f32 v11, v18, 0xbf763a35, v224
	v_add_f32_e32 v45, v45, v40
	v_add_f32_e32 v40, v44, v42
	;; [unrolled: 1-line block ×3, first 2 shown]
	v_fmac_f32_e32 v199, 0x3f4c4adb, v21
	v_add_f32_e32 v10, v11, v10
	v_fmamk_f32 v11, v19, 0xbf2c7751, v220
	v_fmamk_f32 v86, v30, 0x3eb8f4ab, v69
	v_add_f32_e32 v43, v46, v45
	v_fma_f32 v44, 0x3f6eb680, v28, -v212
	v_add_f32_e32 v42, v199, v42
	v_add_f32_e32 v10, v11, v10
	v_fmamk_f32 v11, v20, 0x3eb8f4ab, v217
	v_fmac_f32_e32 v223, 0x3f2c7751, v24
	v_add_f32_e32 v86, v97, v86
	v_add_f32_e32 v44, v44, v43
	v_fma_f32 v46, 0x3ee437d1, v29, -v213
	v_add_f32_e32 v10, v11, v10
	v_fmamk_f32 v11, v22, 0x3ee437d1, v231
	v_add_f32_e32 v43, v223, v42
	v_fma_f32 v42, 0x3ee437d1, v22, -v231
	v_add_f32_e32 v44, v46, v44
	v_fma_f32 v46, 0xbf59a7d5, v31, -v201
	;; [unrolled: 2-line block ×3, first 2 shown]
	v_add_f32_e32 v42, v96, v42
	v_fmac_f32_e32 v69, 0xbeb8f4ab, v30
	v_add_f32_e32 v44, v46, v44
	v_add_f32_e32 v11, v12, v11
	v_fmamk_f32 v12, v21, 0x3f7ee86f, v216
	v_fma_f32 v46, 0xbf1a4643, v32, -v203
	v_add_f32_e32 v42, v47, v42
	v_fma_f32 v47, 0xbf7ba420, v25, -v226
	v_fmac_f32_e32 v237, 0xbf65296c, v30
	v_add_f32_e32 v10, v12, v10
	v_fmamk_f32 v12, v25, 0xbf7ba420, v226
	v_add_f32_e32 v44, v46, v44
	v_add_f32_e32 v42, v47, v42
	v_fma_f32 v46, 0xbe8c1d8e, v28, -v229
	v_fmac_f32_e32 v235, 0xbf4c4adb, v27
	v_add_f32_e32 v11, v12, v11
	v_fmamk_f32 v12, v28, 0xbe8c1d8e, v229
	v_fmac_f32_e32 v225, 0x3e3c28d5, v26
	v_add_f32_e32 v42, v46, v42
	v_fma_f32 v46, 0x3f3d2fb0, v29, -v230
	v_fmac_f32_e32 v224, 0x3f763a35, v18
	v_add_f32_e32 v11, v12, v11
	v_fmamk_f32 v12, v29, 0x3f3d2fb0, v230
	v_add_f32_e32 v45, v97, v237
	v_add_f32_e32 v46, v46, v42
	v_fmac_f32_e32 v220, 0x3f2c7751, v19
	v_fmac_f32_e32 v217, 0xbeb8f4ab, v20
	v_add_f32_e32 v11, v12, v11
	v_fmamk_f32 v12, v31, 0x3f6eb680, v232
	v_add_f32_e32 v45, v235, v45
	v_fmac_f32_e32 v216, 0xbf7ee86f, v21
	v_mov_b32_e32 v206, v71
	v_add_nc_u32_e32 v71, 0x330, v255
	v_add_f32_e32 v11, v12, v11
	v_fmamk_f32 v12, v32, 0x3dbcf732, v233
	v_add_f32_e32 v45, v225, v45
	v_add_f32_e32 v12, v12, v11
	v_fmamk_f32 v11, v24, 0x3f06c442, v227
	v_add_f32_e32 v45, v224, v45
	v_fmac_f32_e32 v227, 0xbf06c442, v24
	v_add_f32_e32 v11, v11, v10
	v_fmamk_f32 v10, v33, 0xbf59a7d5, v234
	v_add_f32_e32 v45, v220, v45
	v_add_f32_e32 v10, v10, v12
	v_fmamk_f32 v12, v30, 0x3f2c7751, v252
	v_fmac_f32_e32 v252, 0xbf2c7751, v30
	v_add_f32_e32 v45, v217, v45
	v_add_f32_e32 v12, v97, v12
	;; [unrolled: 1-line block ×5, first 2 shown]
	v_fmamk_f32 v13, v26, 0x3f4c4adb, v249
	v_add_f32_e32 v47, v251, v48
	v_fma_f32 v48, 0x3f3d2fb0, v33, -v197
	v_fmac_f32_e32 v249, 0xbf4c4adb, v26
	v_add_f32_e32 v45, v227, v45
	v_add_f32_e32 v12, v13, v12
	v_fmamk_f32 v13, v18, 0x3e3c28d5, v248
	v_add_f32_e32 v42, v48, v44
	v_add_f32_e32 v44, v49, v46
	v_fma_f32 v46, 0x3dbcf732, v32, -v233
	v_fma_f32 v48, 0x3f3d2fb0, v22, -v246
	v_add_f32_e32 v12, v13, v12
	v_fmamk_f32 v13, v19, 0xbf06c442, v247
	v_fmac_f32_e32 v248, 0xbe3c28d5, v18
	v_add_f32_e32 v44, v46, v44
	v_fma_f32 v46, 0xbf59a7d5, v33, -v234
	v_add_f32_e32 v47, v249, v47
	v_add_f32_e32 v12, v13, v12
	v_fmamk_f32 v13, v20, 0xbf763a35, v243
	v_fmac_f32_e32 v247, 0x3f06c442, v19
	v_add_f32_e32 v44, v46, v44
	v_add_f32_e32 v46, v96, v48
	v_fma_f32 v48, 0x3dbcf732, v23, -v244
	v_add_f32_e32 v12, v13, v12
	v_fmamk_f32 v13, v22, 0x3f3d2fb0, v246
	v_add_f32_e32 v47, v248, v47
	v_fmac_f32_e32 v243, 0x3f763a35, v20
	v_add_f32_e32 v30, v48, v46
	v_fma_f32 v46, 0xbf1a4643, v25, -v236
	v_add_f32_e32 v13, v96, v13
	v_add_f32_e32 v48, v97, v69
	;; [unrolled: 1-line block ×4, first 2 shown]
	v_fmamk_f32 v68, v21, 0xbf65296c, v245
	v_add_f32_e32 v47, v243, v47
	v_fmac_f32_e32 v245, 0x3f65296c, v21
	v_add_f32_e32 v12, v68, v12
	v_fmamk_f32 v68, v25, 0xbf1a4643, v236
	v_add_f32_e32 v47, v245, v47
	v_add_f32_e32 v13, v68, v13
	v_fmamk_f32 v68, v28, 0xbf7ba420, v238
	v_add_f32_e32 v13, v68, v13
	v_fmamk_f32 v68, v29, 0xbf59a7d5, v239
	;; [unrolled: 2-line block ×5, first 2 shown]
	v_fmac_f32_e32 v242, 0x3eb8f4ab, v24
	v_add_f32_e32 v13, v13, v12
	v_fmamk_f32 v12, v33, 0x3f6eb680, v250
	v_add_f32_e32 v12, v12, v68
	v_mul_f32_e32 v68, 0x3f3d2fb0, v103
	v_fmamk_f32 v103, v27, 0x3f2c7751, v68
	v_fmac_f32_e32 v68, 0xbf2c7751, v27
	v_add_f32_e32 v27, v46, v30
	v_fma_f32 v30, 0xbf7ba420, v28, -v238
	v_add_f32_e32 v86, v103, v86
	v_fmamk_f32 v103, v26, 0x3f65296c, v253
	v_add_f32_e32 v46, v68, v48
	v_fmac_f32_e32 v253, 0xbf65296c, v26
	v_fma_f32 v26, 0xbf59a7d5, v29, -v239
	v_add_f32_e32 v86, v103, v86
	v_fmamk_f32 v103, v18, 0x3f7ee86f, v105
	v_fmac_f32_e32 v105, 0xbf7ee86f, v18
	v_add_f32_e32 v86, v103, v86
	v_mul_f32_e32 v103, 0xbe8c1d8e, v187
	v_fmamk_f32 v186, v19, 0x3f763a35, v103
	v_fmac_f32_e32 v103, 0xbf763a35, v19
	v_add_f32_e32 v186, v186, v86
	v_mul_f32_e32 v86, 0xbf1a4643, v195
	v_mul_f32_e32 v195, 0xbeb8f4ab, v205
	v_fmamk_f32 v187, v20, 0x3f4c4adb, v86
	v_fmac_f32_e32 v86, 0xbf4c4adb, v20
	v_add_f32_e32 v70, v187, v186
	v_mul_f32_e32 v187, 0xbf2c7751, v209
	v_fmamk_f32 v186, v22, 0x3f6eb680, v195
	v_fma_f32 v22, 0x3f6eb680, v22, -v195
	v_fmamk_f32 v205, v23, 0x3f3d2fb0, v187
	v_add_f32_e32 v186, v96, v186
	v_add_f32_e32 v22, v96, v22
	v_fma_f32 v23, 0x3f3d2fb0, v23, -v187
	v_add_f32_e32 v209, v205, v186
	v_mul_f32_e32 v186, 0xbf59a7d5, v14
	v_mul_f32_e32 v205, 0xbf65296c, v204
	;; [unrolled: 1-line block ×3, first 2 shown]
	v_add_f32_e32 v22, v23, v22
	v_fmamk_f32 v14, v21, 0x3f06c442, v186
	v_fma_f32 v23, 0x3ee437d1, v25, -v205
	v_fmamk_f32 v207, v28, 0x3dbcf732, v204
	v_fmac_f32_e32 v186, 0xbf06c442, v21
	v_fma_f32 v21, 0x3f6eb680, v33, -v250
	v_add_f32_e32 v14, v14, v70
	v_fmamk_f32 v70, v25, 0x3ee437d1, v205
	v_add_f32_e32 v25, v30, v27
	v_add_f32_e32 v27, v253, v46
	;; [unrolled: 1-line block ×3, first 2 shown]
	v_fma_f32 v22, 0x3dbcf732, v28, -v204
	v_add_f32_e32 v70, v70, v209
	v_add_f32_e32 v23, v26, v25
	v_fma_f32 v25, 0xbe8c1d8e, v31, -v240
	v_add_f32_e32 v26, v105, v27
	v_add_f32_e32 v18, v22, v18
	v_add_f32_e32 v70, v207, v70
	v_mul_f32_e32 v207, 0xbf763a35, v208
	v_add_f32_e32 v22, v25, v23
	v_fma_f32 v23, 0x3ee437d1, v32, -v241
	v_add_f32_e32 v25, v103, v26
	v_fmamk_f32 v208, v29, 0xbe8c1d8e, v207
	v_fma_f32 v19, 0xbe8c1d8e, v29, -v207
	v_add_f32_e32 v22, v23, v22
	v_add_f32_e32 v23, v86, v25
	s_clause 0x1
	buffer_load_dword v25, off, s[20:23], 0 offset:4
	buffer_load_dword v26, off, s[20:23], 0 offset:8
	v_add_f32_e32 v70, v208, v70
	v_mul_f32_e32 v208, 0xbf4c4adb, v214
	v_add_f32_e32 v18, v19, v18
	v_add_f32_e32 v23, v186, v23
	v_mov_b32_e32 v207, v72
	v_add_nc_u32_e32 v72, 0x2a8, v255
	v_fmamk_f32 v209, v31, 0xbf1a4643, v208
	v_fma_f32 v20, 0xbf1a4643, v31, -v208
	v_add_f32_e32 v19, v242, v47
	v_add_f32_e32 v70, v209, v70
	v_mul_f32_e32 v209, 0xbf06c442, v221
	v_mul_f32_e32 v221, 0xbe3c28d5, v222
	v_add_f32_e32 v18, v20, v18
	v_fmamk_f32 v214, v32, 0xbf59a7d5, v209
	v_fma_f32 v20, 0xbf59a7d5, v32, -v209
	v_add_f32_e32 v70, v214, v70
	v_mul_f32_e32 v214, 0xbf7ba420, v15
	v_add_f32_e32 v20, v20, v18
	v_add_f32_e32 v18, v21, v22
	v_fmamk_f32 v15, v24, 0x3e3c28d5, v214
	v_fmac_f32_e32 v214, 0xbe3c28d5, v24
	v_fma_f32 v24, 0xbf7ba420, v33, -v221
	v_add_f32_e32 v15, v15, v14
	v_fmamk_f32 v14, v33, 0xbf7ba420, v221
	v_add_f32_e32 v21, v214, v23
	v_add_nc_u32_e32 v214, 0x110, v255
	v_add_f32_e32 v20, v24, v20
	v_add_f32_e32 v14, v14, v70
	s_waitcnt vmcnt(0)
	v_lshl_add_u32 v25, v26, 3, v25
	v_add_nc_u32_e32 v26, 0x800, v25
	v_add_nc_u32_e32 v22, 0x1000, v25
	ds_write2_b64 v26, v[16:17], v[14:15] offset0:220 offset1:227
	ds_write2_b64 v26, v[12:13], v[10:11] offset0:234 offset1:241
	;; [unrolled: 1-line block ×8, first 2 shown]
	ds_write_b64 v25, v[20:21] offset:4704
.LBB0_9:
	s_or_b32 exec_lo, exec_lo, s0
	s_waitcnt lgkmcnt(0)
	s_barrier
	buffer_gl0_inv
	ds_read2_b64 v[0:3], v255 offset0:102 offset1:119
	v_add_nc_u32_e32 v40, 0x800, v255
	ds_read2_b64 v[12:15], v255 offset1:17
	ds_read2_b64 v[16:19], v255 offset0:238 offset1:255
	ds_read2_b64 v[20:23], v40 offset0:84 offset1:101
	;; [unrolled: 1-line block ×3, first 2 shown]
	v_add_nc_u32_e32 v42, 0xc00, v255
	ds_read2_b64 v[28:31], v255 offset0:136 offset1:153
	ds_read2_b64 v[32:35], v40 offset0:118 offset1:135
	;; [unrolled: 1-line block ×5, first 2 shown]
	v_add_nc_u32_e32 v41, 0x1000, v255
	ds_read2_b64 v[47:50], v255 offset0:170 offset1:187
	ds_read2_b64 v[51:54], v40 offset0:152 offset1:169
	;; [unrolled: 1-line block ×7, first 2 shown]
	ds_read_b64 v[89:90], v255 offset:4624
	s_mov_b32 s0, 0x1b89401c
	s_mov_b32 s1, 0x3f5b8940
	s_mul_i32 s2, s5, 0x2a8
	s_mul_hi_u32 s3, s4, 0x2a8
	s_add_i32 s2, s3, s2
	s_mul_i32 s3, s4, 0x2a8
	s_waitcnt lgkmcnt(17)
	v_mul_f32_e32 v69, v147, v3
	v_mul_f32_e32 v55, v147, v2
	s_waitcnt lgkmcnt(12)
	v_mul_f32_e32 v95, v131, v29
	v_mul_f32_e32 v92, v135, v23
	;; [unrolled: 1-line block ×3, first 2 shown]
	v_fmac_f32_e32 v69, v146, v2
	v_fma_f32 v70, v146, v3, -v55
	v_mul_f32_e32 v2, v149, v16
	v_mul_f32_e32 v3, v135, v22
	v_fmac_f32_e32 v92, v134, v22
	v_fmac_f32_e32 v91, v148, v16
	v_mul_f32_e32 v16, v133, v18
	v_fma_f32 v94, v148, v17, -v2
	v_fma_f32 v22, v134, v23, -v3
	v_mul_f32_e32 v2, v137, v24
	v_mul_f32_e32 v3, v131, v28
	v_fma_f32 v98, v132, v19, -v16
	s_waitcnt lgkmcnt(11)
	v_mul_f32_e32 v16, v139, v34
	s_waitcnt lgkmcnt(6)
	v_mul_f32_e32 v107, v183, v52
	v_fma_f32 v23, v136, v25, -v2
	v_fma_f32 v97, v130, v29, -v3
	v_mul_f32_e32 v29, v143, v33
	v_mul_f32_e32 v2, v143, v32
	;; [unrolled: 1-line block ×3, first 2 shown]
	v_fma_f32 v104, v138, v35, -v16
	v_mul_f32_e32 v16, v185, v45
	v_fmac_f32_e32 v29, v142, v32
	v_fma_f32 v32, v142, v33, -v2
	v_fma_f32 v33, v144, v27, -v3
	v_mul_f32_e32 v2, v127, v30
	v_mul_f32_e32 v3, v129, v36
	v_fma_f32 v111, v184, v46, -v16
	s_waitcnt lgkmcnt(2)
	v_mul_f32_e32 v16, v167, v81
	v_mul_f32_e32 v93, v137, v25
	v_fma_f32 v102, v126, v31, -v2
	v_fma_f32 v103, v128, v37, -v3
	v_mul_f32_e32 v2, v141, v43
	v_mul_f32_e32 v3, v175, v47
	;; [unrolled: 1-line block ×4, first 2 shown]
	v_fmac_f32_e32 v107, v182, v51
	v_fma_f32 v106, v140, v44, -v2
	v_fma_f32 v67, v174, v48, -v3
	v_mul_f32_e32 v2, v177, v38
	v_mul_f32_e32 v3, v183, v51
	;; [unrolled: 1-line block ×3, first 2 shown]
	v_fma_f32 v51, v166, v82, -v16
	v_mul_f32_e32 v16, v125, v20
	v_fma_f32 v109, v176, v39, -v2
	v_fma_f32 v110, v182, v52, -v3
	v_mul_f32_e32 v2, v179, v49
	v_mul_f32_e32 v3, v181, v73
	v_fmac_f32_e32 v93, v136, v24
	v_mul_f32_e32 v105, v175, v48
	v_fmac_f32_e32 v35, v140, v43
	v_fma_f32 v59, v178, v50, -v2
	v_fma_f32 v60, v180, v74, -v3
	v_mul_f32_e32 v2, v171, v53
	v_mul_f32_e32 v3, v173, v77
	;; [unrolled: 1-line block ×3, first 2 shown]
	v_fma_f32 v44, v124, v21, -v16
	v_add_f32_e32 v16, v12, v69
	v_fma_f32 v63, v170, v54, -v2
	v_fma_f32 v64, v172, v78, -v3
	v_mul_f32_e32 v2, v169, v75
	s_waitcnt lgkmcnt(1)
	v_mul_f32_e32 v3, v163, v85
	v_mul_f32_e32 v96, v133, v19
	v_fmac_f32_e32 v105, v174, v47
	v_fmac_f32_e32 v108, v184, v45
	v_fma_f32 v52, v168, v76, -v2
	v_fma_f32 v54, v162, v86, -v3
	v_mul_f32_e32 v2, v165, v79
	v_mul_f32_e32 v3, v123, v83
	;; [unrolled: 1-line block ×4, first 2 shown]
	v_sub_f32_e32 v17, v70, v23
	v_fma_f32 v57, v164, v80, -v2
	v_fma_f32 v43, v122, v84, -v3
	v_add_f32_e32 v2, v91, v92
	v_mul_f32_e32 v3, v159, v87
	v_add_f32_e32 v21, v69, v93
	s_waitcnt lgkmcnt(0)
	v_mul_f32_e32 v24, v161, v89
	v_fmac_f32_e32 v96, v132, v18
	v_fma_f32 v2, -0.5, v2, v12
	v_fma_f32 v47, v158, v88, -v3
	v_add_f32_e32 v3, v16, v91
	v_mul_f32_e32 v25, v145, v27
	v_fmac_f32_e32 v65, v178, v49
	v_fmac_f32_e32 v45, v124, v20
	v_fmamk_f32 v16, v17, 0xbf737871, v2
	v_sub_f32_e32 v19, v94, v22
	v_sub_f32_e32 v18, v69, v91
	;; [unrolled: 1-line block ×3, first 2 shown]
	v_add_f32_e32 v3, v3, v92
	v_fma_f32 v12, -0.5, v21, v12
	v_fma_f32 v49, v160, v90, -v24
	v_fmac_f32_e32 v2, 0x3f737871, v17
	v_add_f32_e32 v24, v13, v70
	v_mul_f32_e32 v99, v127, v31
	v_fmac_f32_e32 v25, v144, v26
	v_fmac_f32_e32 v16, 0xbf167918, v19
	v_add_f32_e32 v26, v18, v20
	v_add_f32_e32 v20, v3, v93
	v_fmamk_f32 v18, v19, 0x3f737871, v12
	v_sub_f32_e32 v3, v91, v69
	v_sub_f32_e32 v21, v92, v93
	v_fmac_f32_e32 v2, 0x3f167918, v19
	v_add_f32_e32 v27, v94, v22
	v_fmac_f32_e32 v12, 0xbf737871, v19
	v_add_f32_e32 v19, v24, v94
	v_fmac_f32_e32 v95, v130, v28
	v_fmac_f32_e32 v99, v126, v30
	;; [unrolled: 1-line block ×3, first 2 shown]
	v_add_f32_e32 v21, v3, v21
	v_fma_f32 v3, -0.5, v27, v13
	v_sub_f32_e32 v27, v69, v93
	v_fmac_f32_e32 v12, 0x3f167918, v17
	v_add_f32_e32 v19, v19, v22
	v_add_f32_e32 v24, v70, v23
	v_sub_f32_e32 v28, v70, v94
	v_sub_f32_e32 v30, v23, v22
	v_mul_f32_e32 v100, v129, v37
	v_fmac_f32_e32 v16, 0x3e9e377a, v26
	v_fmac_f32_e32 v2, 0x3e9e377a, v26
	;; [unrolled: 1-line block ×3, first 2 shown]
	v_fmamk_f32 v17, v27, 0x3f737871, v3
	v_sub_f32_e32 v26, v91, v92
	v_fmac_f32_e32 v12, 0x3e9e377a, v21
	v_fma_f32 v13, -0.5, v24, v13
	v_add_f32_e32 v21, v19, v23
	v_add_f32_e32 v24, v28, v30
	v_fmac_f32_e32 v3, 0xbf737871, v27
	v_sub_f32_e32 v28, v94, v70
	v_sub_f32_e32 v22, v22, v23
	v_add_f32_e32 v23, v96, v29
	v_fmac_f32_e32 v100, v128, v36
	v_fmac_f32_e32 v17, 0x3f167918, v26
	;; [unrolled: 1-line block ×3, first 2 shown]
	v_add_f32_e32 v28, v28, v22
	v_add_f32_e32 v30, v14, v95
	v_fma_f32 v22, -0.5, v23, v14
	v_sub_f32_e32 v31, v97, v33
	v_add_f32_e32 v36, v95, v25
	v_fmac_f32_e32 v101, v138, v34
	v_fmamk_f32 v19, v26, 0xbf737871, v13
	v_fmac_f32_e32 v17, 0x3e9e377a, v24
	v_fmac_f32_e32 v3, 0x3e9e377a, v24
	;; [unrolled: 1-line block ×3, first 2 shown]
	v_add_f32_e32 v23, v30, v96
	v_fmamk_f32 v24, v31, 0xbf737871, v22
	v_sub_f32_e32 v30, v98, v32
	v_sub_f32_e32 v26, v95, v96
	v_sub_f32_e32 v34, v25, v29
	v_fma_f32 v14, -0.5, v36, v14
	v_fmac_f32_e32 v22, 0x3f737871, v31
	v_add_f32_e32 v36, v15, v97
	v_fmac_f32_e32 v19, 0x3f167918, v27
	v_fmac_f32_e32 v13, 0xbf167918, v27
	v_add_f32_e32 v23, v23, v29
	v_fmac_f32_e32 v24, 0xbf167918, v30
	v_add_f32_e32 v27, v26, v34
	v_fmamk_f32 v26, v30, 0x3f737871, v14
	v_fmac_f32_e32 v22, 0x3f167918, v30
	v_fmac_f32_e32 v14, 0xbf737871, v30
	v_add_f32_e32 v30, v36, v98
	v_mul_f32_e32 v68, v177, v39
	v_fmac_f32_e32 v19, 0x3e9e377a, v28
	v_fmac_f32_e32 v13, 0x3e9e377a, v28
	v_add_f32_e32 v28, v23, v25
	v_fmac_f32_e32 v24, 0x3e9e377a, v27
	v_sub_f32_e32 v23, v96, v95
	v_sub_f32_e32 v34, v29, v25
	v_add_f32_e32 v37, v98, v32
	v_fmac_f32_e32 v22, 0x3e9e377a, v27
	v_add_f32_e32 v27, v30, v32
	v_add_f32_e32 v30, v97, v33
	v_fmac_f32_e32 v68, v176, v38
	v_fmac_f32_e32 v26, 0xbf167918, v31
	v_add_f32_e32 v34, v23, v34
	v_fma_f32 v23, -0.5, v37, v15
	v_sub_f32_e32 v36, v95, v25
	v_fmac_f32_e32 v14, 0x3f167918, v31
	v_sub_f32_e32 v37, v97, v98
	v_sub_f32_e32 v38, v33, v32
	v_fmac_f32_e32 v15, -0.5, v30
	v_sub_f32_e32 v30, v98, v97
	v_sub_f32_e32 v32, v32, v33
	v_fmac_f32_e32 v26, 0x3e9e377a, v34
	v_fmamk_f32 v25, v36, 0x3f737871, v23
	v_sub_f32_e32 v31, v96, v29
	v_fmac_f32_e32 v14, 0x3e9e377a, v34
	v_add_f32_e32 v29, v27, v33
	v_add_f32_e32 v34, v37, v38
	v_fmac_f32_e32 v23, 0xbf737871, v36
	v_add_f32_e32 v33, v100, v101
	v_add_f32_e32 v37, v30, v32
	v_add_f32_e32 v32, v8, v99
	v_fmac_f32_e32 v25, 0x3f167918, v31
	v_fmamk_f32 v27, v31, 0xbf737871, v15
	v_fmac_f32_e32 v23, 0xbf167918, v31
	v_fma_f32 v30, -0.5, v33, v8
	v_sub_f32_e32 v33, v102, v106
	v_fmac_f32_e32 v15, 0x3f737871, v31
	v_add_f32_e32 v31, v32, v100
	v_add_f32_e32 v69, v99, v35
	v_fmac_f32_e32 v25, 0x3e9e377a, v34
	v_fmac_f32_e32 v27, 0x3f167918, v36
	;; [unrolled: 1-line block ×3, first 2 shown]
	v_fmamk_f32 v32, v33, 0xbf737871, v30
	v_sub_f32_e32 v38, v103, v104
	v_sub_f32_e32 v34, v99, v100
	;; [unrolled: 1-line block ×3, first 2 shown]
	v_fmac_f32_e32 v15, 0xbf167918, v36
	v_add_f32_e32 v31, v31, v101
	v_fma_f32 v8, -0.5, v69, v8
	v_fmac_f32_e32 v30, 0x3f737871, v33
	v_add_f32_e32 v69, v9, v102
	v_mul_f32_e32 v61, v181, v74
	v_fmac_f32_e32 v27, 0x3e9e377a, v37
	v_fmac_f32_e32 v32, 0xbf167918, v38
	v_add_f32_e32 v39, v34, v39
	v_fmac_f32_e32 v15, 0x3e9e377a, v37
	v_add_f32_e32 v34, v31, v35
	v_fmamk_f32 v36, v38, 0x3f737871, v8
	v_sub_f32_e32 v31, v100, v99
	v_sub_f32_e32 v37, v101, v35
	v_fmac_f32_e32 v30, 0x3f167918, v38
	v_add_f32_e32 v70, v103, v104
	v_fmac_f32_e32 v8, 0xbf737871, v38
	v_add_f32_e32 v38, v69, v103
	;; [unrolled: 2-line block ×3, first 2 shown]
	v_fma_f32 v31, -0.5, v70, v9
	v_sub_f32_e32 v69, v99, v35
	v_add_f32_e32 v35, v38, v104
	v_add_f32_e32 v38, v102, v106
	v_sub_f32_e32 v70, v102, v103
	v_sub_f32_e32 v73, v106, v104
	v_fmac_f32_e32 v62, v170, v53
	v_mul_f32_e32 v53, v169, v76
	v_fma_f32 v9, -0.5, v38, v9
	v_sub_f32_e32 v38, v103, v102
	v_add_f32_e32 v70, v70, v73
	v_sub_f32_e32 v73, v104, v106
	v_fmac_f32_e32 v53, v168, v75
	v_fmac_f32_e32 v32, 0x3e9e377a, v39
	;; [unrolled: 1-line block ×5, first 2 shown]
	v_fmamk_f32 v33, v69, 0x3f737871, v31
	v_sub_f32_e32 v39, v100, v101
	v_fmac_f32_e32 v31, 0xbf737871, v69
	v_add_f32_e32 v74, v68, v107
	v_add_f32_e32 v75, v38, v73
	;; [unrolled: 1-line block ×3, first 2 shown]
	v_mul_f32_e32 v66, v173, v78
	v_fmac_f32_e32 v36, 0x3e9e377a, v37
	v_fmac_f32_e32 v8, 0x3e9e377a, v37
	;; [unrolled: 1-line block ×3, first 2 shown]
	v_fmamk_f32 v37, v39, 0xbf737871, v9
	v_fmac_f32_e32 v31, 0xbf167918, v39
	v_fma_f32 v38, -0.5, v74, v10
	v_sub_f32_e32 v74, v67, v111
	v_fmac_f32_e32 v9, 0x3f737871, v39
	v_add_f32_e32 v39, v73, v68
	v_add_f32_e32 v78, v105, v108
	v_fmac_f32_e32 v66, v172, v77
	v_mul_f32_e32 v58, v165, v80
	v_fmac_f32_e32 v33, 0x3e9e377a, v70
	v_fmac_f32_e32 v37, 0x3f167918, v69
	;; [unrolled: 1-line block ×3, first 2 shown]
	v_fmamk_f32 v73, v74, 0xbf737871, v38
	v_sub_f32_e32 v70, v109, v110
	v_sub_f32_e32 v76, v105, v68
	;; [unrolled: 1-line block ×3, first 2 shown]
	v_fmac_f32_e32 v9, 0xbf167918, v69
	v_add_f32_e32 v39, v39, v107
	v_fma_f32 v10, -0.5, v78, v10
	v_fmac_f32_e32 v38, 0x3f737871, v74
	v_add_f32_e32 v78, v11, v67
	v_fmac_f32_e32 v58, v164, v79
	v_fmac_f32_e32 v37, 0x3e9e377a, v75
	;; [unrolled: 1-line block ×3, first 2 shown]
	v_add_f32_e32 v69, v76, v77
	v_fmac_f32_e32 v9, 0x3e9e377a, v75
	v_add_f32_e32 v75, v39, v108
	v_fmamk_f32 v77, v70, 0x3f737871, v10
	v_sub_f32_e32 v39, v68, v105
	v_sub_f32_e32 v76, v107, v108
	v_fmac_f32_e32 v38, 0x3f167918, v70
	v_add_f32_e32 v79, v109, v110
	v_fmac_f32_e32 v10, 0xbf737871, v70
	v_add_f32_e32 v70, v78, v109
	v_mul_f32_e32 v56, v167, v82
	v_fmac_f32_e32 v73, 0x3e9e377a, v69
	v_add_f32_e32 v76, v39, v76
	v_fma_f32 v39, -0.5, v79, v11
	v_sub_f32_e32 v80, v105, v108
	v_fmac_f32_e32 v38, 0x3e9e377a, v69
	v_add_f32_e32 v69, v70, v110
	v_add_f32_e32 v70, v67, v111
	v_fmac_f32_e32 v56, v166, v81
	v_fmac_f32_e32 v77, 0xbf167918, v74
	;; [unrolled: 1-line block ×3, first 2 shown]
	v_fmamk_f32 v74, v80, 0x3f737871, v39
	v_sub_f32_e32 v68, v68, v107
	v_sub_f32_e32 v78, v67, v109
	;; [unrolled: 1-line block ×3, first 2 shown]
	v_fmac_f32_e32 v11, -0.5, v70
	v_fmac_f32_e32 v39, 0xbf737871, v80
	v_add_f32_e32 v81, v4, v65
	v_mul_f32_e32 v46, v123, v84
	v_fmac_f32_e32 v77, 0x3e9e377a, v76
	v_fmac_f32_e32 v10, 0x3e9e377a, v76
	v_add_f32_e32 v76, v69, v111
	v_fmac_f32_e32 v74, 0x3f167918, v68
	v_add_f32_e32 v69, v78, v79
	v_fmamk_f32 v78, v68, 0xbf737871, v11
	v_sub_f32_e32 v67, v109, v67
	v_sub_f32_e32 v70, v110, v111
	v_add_f32_e32 v79, v61, v62
	v_fmac_f32_e32 v39, 0xbf167918, v68
	v_fmac_f32_e32 v11, 0x3f737871, v68
	v_add_f32_e32 v68, v81, v61
	v_mul_f32_e32 v55, v163, v86
	v_fmac_f32_e32 v46, v122, v83
	v_fmac_f32_e32 v78, 0x3f167918, v80
	v_add_f32_e32 v70, v67, v70
	v_fma_f32 v67, -0.5, v79, v4
	v_sub_f32_e32 v82, v59, v64
	v_sub_f32_e32 v81, v65, v61
	;; [unrolled: 1-line block ×3, first 2 shown]
	v_add_f32_e32 v84, v65, v66
	v_fmac_f32_e32 v11, 0xbf167918, v80
	v_add_f32_e32 v68, v68, v62
	v_fmac_f32_e32 v55, v162, v85
	v_fmac_f32_e32 v74, 0x3e9e377a, v69
	;; [unrolled: 1-line block ×4, first 2 shown]
	v_fmamk_f32 v79, v82, 0xbf737871, v67
	v_sub_f32_e32 v69, v60, v63
	v_add_f32_e32 v80, v81, v83
	v_fma_f32 v4, -0.5, v84, v4
	v_fmac_f32_e32 v11, 0x3e9e377a, v70
	v_add_f32_e32 v81, v68, v66
	v_fmac_f32_e32 v67, 0x3f737871, v82
	v_sub_f32_e32 v68, v61, v65
	v_sub_f32_e32 v70, v62, v66
	v_add_f32_e32 v84, v5, v59
	v_add_f32_e32 v85, v60, v63
	v_fmac_f32_e32 v79, 0xbf167918, v69
	v_fmamk_f32 v83, v69, 0x3f737871, v4
	v_fmac_f32_e32 v67, 0x3f167918, v69
	v_add_f32_e32 v70, v68, v70
	v_fmac_f32_e32 v4, 0xbf737871, v69
	v_add_f32_e32 v69, v84, v60
	v_fma_f32 v68, -0.5, v85, v5
	v_sub_f32_e32 v65, v65, v66
	v_fmac_f32_e32 v79, 0x3e9e377a, v80
	v_fmac_f32_e32 v67, 0x3e9e377a, v80
	v_add_f32_e32 v66, v69, v63
	v_add_f32_e32 v69, v59, v64
	v_fmamk_f32 v80, v65, 0x3f737871, v68
	v_sub_f32_e32 v61, v61, v62
	v_sub_f32_e32 v62, v59, v60
	;; [unrolled: 1-line block ×3, first 2 shown]
	v_fmac_f32_e32 v68, 0xbf737871, v65
	v_fmac_f32_e32 v83, 0xbf167918, v82
	;; [unrolled: 1-line block ×3, first 2 shown]
	v_fma_f32 v5, -0.5, v69, v5
	v_add_f32_e32 v82, v66, v64
	v_fmac_f32_e32 v80, 0x3f167918, v61
	v_add_f32_e32 v62, v62, v84
	v_sub_f32_e32 v59, v60, v59
	v_sub_f32_e32 v60, v63, v64
	v_fmac_f32_e32 v68, 0xbf167918, v61
	v_add_f32_e32 v64, v6, v56
	v_fmamk_f32 v84, v61, 0xbf737871, v5
	v_fmac_f32_e32 v80, 0x3e9e377a, v62
	v_add_f32_e32 v63, v53, v55
	v_fmac_f32_e32 v68, 0x3e9e377a, v62
	v_fmac_f32_e32 v5, 0x3f737871, v61
	v_add_f32_e32 v62, v64, v53
	v_fmac_f32_e32 v83, 0x3e9e377a, v70
	v_fmac_f32_e32 v4, 0x3e9e377a, v70
	;; [unrolled: 1-line block ×3, first 2 shown]
	v_add_f32_e32 v60, v59, v60
	v_fma_f32 v59, -0.5, v63, v6
	v_sub_f32_e32 v66, v51, v57
	v_sub_f32_e32 v63, v56, v53
	;; [unrolled: 1-line block ×3, first 2 shown]
	v_add_f32_e32 v70, v56, v58
	v_fmac_f32_e32 v5, 0xbf167918, v65
	v_add_f32_e32 v62, v62, v55
	v_mul_f32_e32 v48, v159, v88
	v_fmac_f32_e32 v84, 0x3e9e377a, v60
	v_fmamk_f32 v61, v66, 0xbf737871, v59
	v_sub_f32_e32 v64, v52, v54
	v_add_f32_e32 v69, v63, v69
	v_fma_f32 v6, -0.5, v70, v6
	v_fmac_f32_e32 v5, 0x3e9e377a, v60
	v_add_f32_e32 v63, v62, v58
	v_fmac_f32_e32 v59, 0x3f737871, v66
	v_sub_f32_e32 v60, v53, v56
	v_sub_f32_e32 v62, v55, v58
	v_add_f32_e32 v70, v7, v51
	v_add_f32_e32 v85, v52, v54
	v_fmac_f32_e32 v48, v158, v87
	v_fmac_f32_e32 v61, 0xbf167918, v64
	v_fmamk_f32 v65, v64, 0x3f737871, v6
	v_fmac_f32_e32 v59, 0x3f167918, v64
	v_add_f32_e32 v86, v60, v62
	v_fmac_f32_e32 v6, 0xbf737871, v64
	v_add_f32_e32 v62, v70, v52
	v_fma_f32 v60, -0.5, v85, v7
	v_sub_f32_e32 v56, v56, v58
	v_add_f32_e32 v64, v51, v57
	v_mul_f32_e32 v50, v161, v90
	v_fmac_f32_e32 v65, 0xbf167918, v66
	v_fmac_f32_e32 v6, 0x3f167918, v66
	v_add_f32_e32 v58, v62, v54
	v_fmamk_f32 v62, v56, 0x3f737871, v60
	v_sub_f32_e32 v53, v53, v55
	v_sub_f32_e32 v55, v51, v52
	;; [unrolled: 1-line block ×3, first 2 shown]
	v_fmac_f32_e32 v7, -0.5, v64
	v_fmac_f32_e32 v60, 0xbf737871, v56
	v_sub_f32_e32 v51, v52, v51
	v_sub_f32_e32 v52, v54, v57
	v_add_f32_e32 v54, v45, v48
	v_fmac_f32_e32 v50, v160, v89
	v_fmac_f32_e32 v62, 0x3f167918, v53
	v_add_f32_e32 v55, v55, v66
	v_fmamk_f32 v66, v53, 0xbf737871, v7
	v_fmac_f32_e32 v60, 0xbf167918, v53
	v_add_f32_e32 v52, v51, v52
	v_fmac_f32_e32 v7, 0x3f737871, v53
	v_add_f32_e32 v53, v0, v46
	v_fma_f32 v51, -0.5, v54, v0
	v_sub_f32_e32 v54, v43, v49
	v_fmac_f32_e32 v61, 0x3e9e377a, v69
	v_fmac_f32_e32 v59, 0x3e9e377a, v69
	v_add_f32_e32 v64, v58, v57
	v_fmac_f32_e32 v62, 0x3e9e377a, v55
	v_fmac_f32_e32 v66, 0x3f167918, v56
	;; [unrolled: 1-line block ×4, first 2 shown]
	v_add_f32_e32 v55, v53, v45
	v_fmamk_f32 v53, v54, 0xbf737871, v51
	v_sub_f32_e32 v56, v44, v47
	v_sub_f32_e32 v57, v46, v45
	;; [unrolled: 1-line block ×3, first 2 shown]
	v_fmac_f32_e32 v51, 0x3f737871, v54
	v_add_f32_e32 v69, v46, v50
	v_add_f32_e32 v55, v55, v48
	v_fmac_f32_e32 v53, 0xbf167918, v56
	v_add_f32_e32 v57, v57, v58
	v_fmac_f32_e32 v51, 0x3f167918, v56
	v_fma_f32 v0, -0.5, v69, v0
	v_sub_f32_e32 v58, v45, v46
	v_sub_f32_e32 v69, v48, v50
	v_fmac_f32_e32 v66, 0x3e9e377a, v52
	v_fmac_f32_e32 v7, 0x3e9e377a, v52
	v_add_f32_e32 v55, v55, v50
	v_fmac_f32_e32 v53, 0x3e9e377a, v57
	v_fmac_f32_e32 v51, 0x3e9e377a, v57
	v_fmamk_f32 v57, v56, 0x3f737871, v0
	v_add_f32_e32 v52, v44, v47
	v_fmac_f32_e32 v0, 0xbf737871, v56
	v_add_f32_e32 v56, v1, v43
	v_sub_f32_e32 v46, v46, v50
	v_add_f32_e32 v50, v58, v69
	v_add_f32_e32 v58, v43, v49
	v_fma_f32 v52, -0.5, v52, v1
	v_fmac_f32_e32 v57, 0xbf167918, v54
	v_fmac_f32_e32 v0, 0x3f167918, v54
	v_add_f32_e32 v56, v56, v44
	v_sub_f32_e32 v45, v45, v48
	v_fmac_f32_e32 v1, -0.5, v58
	v_fmamk_f32 v54, v46, 0x3f737871, v52
	v_fmac_f32_e32 v57, 0x3e9e377a, v50
	v_fmac_f32_e32 v0, 0x3e9e377a, v50
	v_add_f32_e32 v48, v56, v47
	v_sub_f32_e32 v50, v43, v44
	v_sub_f32_e32 v56, v49, v47
	v_fmamk_f32 v58, v45, 0xbf737871, v1
	v_sub_f32_e32 v43, v44, v43
	v_sub_f32_e32 v44, v47, v49
	v_fmac_f32_e32 v52, 0xbf737871, v46
	v_fmac_f32_e32 v1, 0x3f737871, v45
	ds_write_b64 v255, v[20:21]
	ds_write_b64 v254, v[16:17] offset:952
	ds_write_b64 v254, v[18:19] offset:1904
	;; [unrolled: 1-line block ×7, first 2 shown]
	v_add_nc_u32_e32 v2, 0x800, v214
	v_add_f32_e32 v35, v35, v106
	v_add_nc_u32_e32 v3, 0x800, v207
	v_fmac_f32_e32 v54, 0x3f167918, v45
	v_add_f32_e32 v47, v50, v56
	v_fmac_f32_e32 v58, 0x3f167918, v46
	v_add_f32_e32 v43, v43, v44
	v_fmac_f32_e32 v52, 0xbf167918, v45
	v_fmac_f32_e32 v1, 0xbf167918, v46
	ds_write_b64 v254, v[14:15] offset:2992
	ds_write_b64 v254, v[22:23] offset:3944
	ds_write2_b64 v214, v[32:33], v[36:37] offset0:119 offset1:238
	ds_write2_b64 v2, v[8:9], v[30:31] offset0:101 offset1:220
	;; [unrolled: 1-line block ×3, first 2 shown]
	v_add_nc_u32_e32 v2, 0x800, v206
	v_fmac_f32_e32 v65, 0x3e9e377a, v86
	v_fmac_f32_e32 v6, 0x3e9e377a, v86
	ds_write2_b64 v207, v[73:74], v[77:78] offset0:119 offset1:238
	ds_write2_b64 v3, v[10:11], v[38:39] offset0:101 offset1:220
	;; [unrolled: 1-line block ×3, first 2 shown]
	v_add_nc_u32_e32 v3, 0x800, v72
	v_add_f32_e32 v56, v48, v49
	v_fmac_f32_e32 v54, 0x3e9e377a, v47
	v_fmac_f32_e32 v58, 0x3e9e377a, v43
	;; [unrolled: 1-line block ×4, first 2 shown]
	ds_write2_b64 v2, v[4:5], v[67:68] offset0:101 offset1:220
	ds_write2_b64 v255, v[81:82], v[63:64] offset0:68 offset1:85
	v_add_nc_u32_e32 v2, 0x800, v71
	ds_write2_b64 v72, v[61:62], v[65:66] offset0:119 offset1:238
	ds_write2_b64 v3, v[6:7], v[59:60] offset0:101 offset1:220
	ds_write_b64 v255, v[55:56] offset:816
	ds_write2_b64 v71, v[53:54], v[57:58] offset0:119 offset1:238
	ds_write2_b64 v2, v[0:1], v[51:52] offset0:101 offset1:220
	s_waitcnt lgkmcnt(0)
	s_barrier
	buffer_gl0_inv
	ds_read2_b64 v[8:11], v255 offset1:17
	s_clause 0x1
	buffer_load_dword v2, off, s[20:23], 0 offset:300
	buffer_load_dword v3, off, s[20:23], 0 offset:304
	s_waitcnt vmcnt(0) lgkmcnt(0)
	v_mul_f32_e32 v0, v3, v9
	v_mul_f32_e32 v1, v3, v8
	v_fmac_f32_e32 v0, v2, v8
	v_fma_f32 v2, v2, v9, -v1
	ds_read2_b64 v[6:9], v255 offset0:68 offset1:85
	s_clause 0x3
	buffer_load_dword v4, off, s[20:23], 0 offset:188
	buffer_load_dword v5, off, s[20:23], 0 offset:192
	;; [unrolled: 1-line block ×4, first 2 shown]
	v_cvt_f64_f32_e32 v[0:1], v0
	v_cvt_f64_f32_e32 v[2:3], v2
	v_mul_f64 v[20:21], v[0:1], s[0:1]
	v_mul_f64 v[22:23], v[2:3], s[0:1]
	v_cvt_f32_f64_e32 v30, v[20:21]
	v_cvt_f32_f64_e32 v31, v[22:23]
	s_waitcnt vmcnt(3)
	v_mov_b32_e32 v12, v4
	s_waitcnt vmcnt(0) lgkmcnt(0)
	v_mul_f32_e32 v0, v19, v9
	v_mul_f32_e32 v1, v19, v8
	v_mad_u64_u32 v[4:5], null, s6, v12, 0
	v_fmac_f32_e32 v0, v18, v8
	v_fma_f32 v1, v18, v9, -v1
	s_mul_hi_u32 s6, s4, 0xfffff098
	s_sub_i32 s6, s6, s4
	v_cvt_f64_f32_e32 v[26:27], v0
	v_mad_u64_u32 v[16:17], null, s7, v12, v[5:6]
	buffer_load_dword v17, off, s[20:23], 0 ; 4-byte Folded Reload
	ds_read2_b64 v[12:15], v255 offset0:170 offset1:187
	v_cvt_f64_f32_e32 v[28:29], v1
	ds_read2_b64 v[0:3], v255 offset0:238 offset1:255
	s_mul_i32 s7, s5, 0xfffff098
	v_mov_b32_e32 v5, v16
	s_add_i32 s6, s6, s7
	s_mul_i32 s7, s4, 0xfffff098
	v_lshlrev_b64 v[4:5], 3, v[4:5]
	v_mul_f64 v[26:27], v[26:27], s[0:1]
	v_mul_f64 v[28:29], v[28:29], s[0:1]
	s_waitcnt vmcnt(0)
	v_mad_u64_u32 v[24:25], null, s4, v17, 0
	v_mov_b32_e32 v8, v25
	v_mad_u64_u32 v[8:9], null, s5, v17, v[8:9]
	ds_read2_b64 v[16:19], v40 offset0:84 offset1:101
	s_clause 0x3
	buffer_load_dword v34, off, s[20:23], 0 offset:268
	buffer_load_dword v35, off, s[20:23], 0 offset:272
	;; [unrolled: 1-line block ×4, first 2 shown]
	v_mov_b32_e32 v25, v8
	v_add_co_u32 v8, vcc_lo, s8, v4
	v_add_co_ci_u32_e32 v9, vcc_lo, s9, v5, vcc_lo
	v_lshlrev_b64 v[24:25], 3, v[24:25]
	s_waitcnt vmcnt(2) lgkmcnt(2)
	v_mul_f32_e32 v20, v35, v13
	v_mul_f32_e32 v4, v35, v12
	s_waitcnt vmcnt(0) lgkmcnt(1)
	v_mul_f32_e32 v5, v22, v3
	v_fmac_f32_e32 v20, v34, v12
	v_mul_f32_e32 v12, v22, v2
	v_fmac_f32_e32 v5, v21, v2
	v_fma_f32 v4, v34, v13, -v4
	v_cvt_f64_f32_e32 v[32:33], v20
	v_fma_f32 v2, v21, v3, -v12
	s_clause 0x1
	buffer_load_dword v20, off, s[20:23], 0 offset:292
	buffer_load_dword v21, off, s[20:23], 0 offset:296
	v_cvt_f64_f32_e32 v[12:13], v4
	v_cvt_f64_f32_e32 v[34:35], v5
	;; [unrolled: 1-line block ×3, first 2 shown]
	v_mul_f64 v[12:13], v[12:13], s[0:1]
	s_waitcnt vmcnt(0) lgkmcnt(0)
	v_mul_f32_e32 v38, v21, v17
	v_mul_f32_e32 v3, v21, v16
	v_fmac_f32_e32 v38, v20, v16
	v_add_co_u32 v16, vcc_lo, v8, v24
	v_fma_f32 v39, v20, v17, -v3
	v_add_co_ci_u32_e32 v17, vcc_lo, v9, v25, vcc_lo
	ds_read2_b64 v[2:5], v40 offset0:152 offset1:169
	ds_read2_b64 v[20:23], v42 offset0:126 offset1:143
	v_cvt_f64_f32_e32 v[24:25], v38
	v_cvt_f64_f32_e32 v[38:39], v39
	global_store_dwordx2 v[16:17], v[30:31], off
	s_clause 0x1
	buffer_load_dword v45, off, s[20:23], 0 offset:276
	buffer_load_dword v46, off, s[20:23], 0 offset:280
	v_cvt_f32_f64_e32 v30, v[26:27]
	v_mul_f64 v[26:27], v[32:33], s[0:1]
	v_cvt_f32_f64_e32 v31, v[28:29]
	v_mul_f64 v[28:29], v[34:35], s[0:1]
	v_mul_f64 v[32:33], v[36:37], s[0:1]
	v_add_co_u32 v16, vcc_lo, v16, s3
	v_add_co_ci_u32_e32 v17, vcc_lo, s2, v17, vcc_lo
	v_mul_f64 v[34:35], v[38:39], s[0:1]
	v_cvt_f32_f64_e32 v28, v[28:29]
	v_cvt_f32_f64_e32 v29, v[32:33]
	s_waitcnt vmcnt(0) lgkmcnt(1)
	v_mul_f32_e32 v42, v46, v5
	v_mul_f32_e32 v43, v46, v4
	s_clause 0x1
	buffer_load_dword v46, off, s[20:23], 0 offset:252
	buffer_load_dword v47, off, s[20:23], 0 offset:256
	v_fmac_f32_e32 v42, v45, v4
	v_fma_f32 v43, v45, v5, -v43
	v_mul_f64 v[4:5], v[24:25], s[0:1]
	v_cvt_f32_f64_e32 v45, v[12:13]
	v_cvt_f64_f32_e32 v[36:37], v42
	v_cvt_f64_f32_e32 v[38:39], v43
	v_cvt_f32_f64_e32 v4, v[4:5]
	v_cvt_f32_f64_e32 v5, v[34:35]
	v_mul_f64 v[34:35], v[36:37], s[0:1]
	v_mul_f64 v[36:37], v[38:39], s[0:1]
	s_waitcnt vmcnt(0) lgkmcnt(0)
	v_mul_f32_e32 v44, v47, v21
	v_fmac_f32_e32 v44, v46, v20
	v_mul_f32_e32 v20, v47, v20
	v_cvt_f64_f32_e32 v[42:43], v44
	v_cvt_f32_f64_e32 v44, v[26:27]
	ds_read2_b64 v[24:27], v255 offset0:102 offset1:119
	s_clause 0x3
	buffer_load_dword v51, off, s[20:23], 0 offset:236
	buffer_load_dword v52, off, s[20:23], 0 offset:240
	buffer_load_dword v49, off, s[20:23], 0 offset:220
	buffer_load_dword v50, off, s[20:23], 0 offset:224
	v_fma_f32 v12, v46, v21, -v20
	s_clause 0x1
	buffer_load_dword v56, off, s[20:23], 0 offset:204
	buffer_load_dword v57, off, s[20:23], 0 offset:208
	v_add_co_u32 v20, vcc_lo, v16, s3
	v_add_co_ci_u32_e32 v21, vcc_lo, s2, v17, vcc_lo
	v_cvt_f64_f32_e32 v[12:13], v12
	v_add_co_u32 v32, vcc_lo, v20, s3
	v_add_co_ci_u32_e32 v33, vcc_lo, s2, v21, vcc_lo
	v_add_co_u32 v54, vcc_lo, v32, s3
	v_add_co_ci_u32_e32 v55, vcc_lo, s2, v33, vcc_lo
	v_mul_f64 v[38:39], v[42:43], s[0:1]
	s_waitcnt vmcnt(4)
	v_mul_f32_e32 v46, v52, v11
	s_waitcnt vmcnt(2) lgkmcnt(0)
	v_mul_f32_e32 v47, v50, v24
	v_mul_f32_e32 v48, v50, v25
	v_fmac_f32_e32 v46, v51, v10
	v_mul_f32_e32 v10, v52, v10
	v_fmac_f32_e32 v48, v49, v24
	s_waitcnt vmcnt(0)
	v_mul_f32_e32 v52, v57, v15
	v_cvt_f64_f32_e32 v[42:43], v46
	v_fma_f32 v10, v51, v11, -v10
	v_fma_f32 v11, v49, v25, -v47
	v_mul_f64 v[24:25], v[12:13], s[0:1]
	v_fmac_f32_e32 v52, v56, v14
	v_mul_f32_e32 v14, v57, v14
	v_cvt_f64_f32_e32 v[46:47], v10
	v_cvt_f64_f32_e32 v[50:51], v11
	ds_read2_b64 v[10:13], v40 offset0:16 offset1:33
	global_store_dwordx2 v[16:17], v[30:31], off
	global_store_dwordx2 v[20:21], v[44:45], off
	;; [unrolled: 1-line block ×4, first 2 shown]
	s_clause 0x1
	buffer_load_dword v30, off, s[20:23], 0 offset:244
	buffer_load_dword v31, off, s[20:23], 0 offset:248
	v_fma_f32 v14, v56, v15, -v14
	v_cvt_f64_f32_e32 v[52:53], v52
	v_cvt_f32_f64_e32 v20, v[34:35]
	v_cvt_f32_f64_e32 v21, v[36:37]
	;; [unrolled: 1-line block ×3, first 2 shown]
	v_cvt_f64_f32_e32 v[4:5], v14
	v_cvt_f64_f32_e32 v[48:49], v48
	v_add_co_u32 v32, vcc_lo, v54, s3
	v_add_co_ci_u32_e32 v33, vcc_lo, s2, v55, vcc_lo
	v_mul_f64 v[14:15], v[42:43], s[0:1]
	v_cvt_f32_f64_e32 v35, v[24:25]
	v_mul_f64 v[28:29], v[46:47], s[0:1]
	v_mul_f64 v[36:37], v[50:51], s[0:1]
	;; [unrolled: 1-line block ×5, first 2 shown]
	v_cvt_f32_f64_e32 v46, v[14:15]
	v_cvt_f32_f64_e32 v47, v[28:29]
	;; [unrolled: 1-line block ×6, first 2 shown]
	s_waitcnt vmcnt(0) lgkmcnt(0)
	v_mul_f32_e32 v16, v31, v11
	v_mul_f32_e32 v17, v31, v10
	v_fmac_f32_e32 v16, v30, v10
	v_fma_f32 v17, v30, v11, -v17
	v_add_co_u32 v10, vcc_lo, v32, s3
	v_add_co_ci_u32_e32 v11, vcc_lo, s2, v33, vcc_lo
	v_cvt_f64_f32_e32 v[42:43], v16
	v_cvt_f64_f32_e32 v[44:45], v17
	ds_read2_b64 v[14:17], v40 offset0:186 offset1:203
	s_clause 0x1
	buffer_load_dword v51, off, s[20:23], 0 offset:196
	buffer_load_dword v52, off, s[20:23], 0 offset:200
	ds_read2_b64 v[28:31], v255 offset0:34 offset1:51
	v_add_co_u32 v48, vcc_lo, v10, s7
	v_add_co_ci_u32_e32 v49, vcc_lo, s6, v11, vcc_lo
	v_mul_f64 v[4:5], v[42:43], s[0:1]
	v_mul_f64 v[38:39], v[44:45], s[0:1]
	v_cvt_f32_f64_e32 v4, v[4:5]
	v_cvt_f32_f64_e32 v5, v[38:39]
	s_waitcnt vmcnt(0)
	v_mul_f32_e32 v50, v52, v19
	v_fmac_f32_e32 v50, v51, v18
	v_mul_f32_e32 v18, v52, v18
	s_clause 0x1
	buffer_load_dword v52, off, s[20:23], 0 offset:212
	buffer_load_dword v53, off, s[20:23], 0 offset:216
	v_cvt_f64_f32_e32 v[42:43], v50
	v_fma_f32 v18, v51, v19, -v18
	v_cvt_f64_f32_e32 v[18:19], v18
	v_mul_f64 v[42:43], v[42:43], s[0:1]
	v_cvt_f32_f64_e32 v38, v[42:43]
	s_waitcnt vmcnt(0) lgkmcnt(1)
	v_mul_f32_e32 v44, v53, v15
	v_mul_f32_e32 v45, v53, v14
	s_clause 0x3
	buffer_load_dword v53, off, s[20:23], 0 offset:228
	buffer_load_dword v54, off, s[20:23], 0 offset:232
	;; [unrolled: 1-line block ×4, first 2 shown]
	v_fmac_f32_e32 v44, v52, v14
	v_fma_f32 v45, v52, v15, -v45
	v_add_co_u32 v52, vcc_lo, v48, s3
	v_cvt_f64_f32_e32 v[14:15], v44
	s_waitcnt vmcnt(2)
	v_mul_f32_e32 v50, v54, v23
	v_mul_f32_e32 v51, v54, v22
	s_waitcnt vmcnt(0) lgkmcnt(0)
	v_mul_f32_e32 v54, v57, v29
	v_fmac_f32_e32 v50, v53, v22
	v_fma_f32 v51, v53, v23, -v51
	v_cvt_f64_f32_e32 v[22:23], v45
	v_fmac_f32_e32 v54, v56, v28
	v_mul_f32_e32 v28, v57, v28
	v_cvt_f64_f32_e32 v[44:45], v50
	v_cvt_f64_f32_e32 v[50:51], v51
	v_add_co_ci_u32_e32 v53, vcc_lo, s2, v49, vcc_lo
	v_fma_f32 v58, v56, v29, -v28
	v_add_co_u32 v28, vcc_lo, v52, s3
	v_add_co_ci_u32_e32 v29, vcc_lo, s2, v53, vcc_lo
	global_store_dwordx2 v[32:33], v[20:21], off
	global_store_dwordx2 v[10:11], v[34:35], off
	;; [unrolled: 1-line block ×5, first 2 shown]
	v_mul_f64 v[10:11], v[14:15], s[0:1]
	v_mul_f64 v[56:57], v[18:19], s[0:1]
	v_cvt_f64_f32_e32 v[54:55], v54
	v_cvt_f64_f32_e32 v[58:59], v58
	v_add_co_u32 v28, vcc_lo, v28, s3
	v_add_co_ci_u32_e32 v29, vcc_lo, s2, v29, vcc_lo
	v_mul_f64 v[14:15], v[22:23], s[0:1]
	v_add_co_u32 v46, vcc_lo, v28, s3
	v_mul_f64 v[32:33], v[44:45], s[0:1]
	v_mul_f64 v[34:35], v[50:51], s[0:1]
	s_clause 0x1
	buffer_load_dword v50, off, s[20:23], 0 offset:140
	buffer_load_dword v51, off, s[20:23], 0 offset:144
	ds_read2_b64 v[18:21], v255 offset0:204 offset1:221
	v_add_co_ci_u32_e32 v47, vcc_lo, s2, v29, vcc_lo
	v_cvt_f32_f64_e32 v48, v[10:11]
	v_cvt_f32_f64_e32 v39, v[56:57]
	v_mul_f64 v[36:37], v[54:55], s[0:1]
	v_mul_f64 v[42:43], v[58:59], s[0:1]
	v_cvt_f32_f64_e32 v49, v[14:15]
	v_add_co_u32 v14, vcc_lo, v46, s3
	v_cvt_f32_f64_e32 v32, v[32:33]
	v_cvt_f32_f64_e32 v33, v[34:35]
	v_add_co_ci_u32_e32 v15, vcc_lo, s2, v47, vcc_lo
	v_add_co_u32 v56, vcc_lo, v14, s3
	v_add_co_ci_u32_e32 v57, vcc_lo, s2, v15, vcc_lo
	s_waitcnt vmcnt(0)
	v_mul_f32_e32 v22, v51, v27
	v_mul_f32_e32 v10, v51, v26
	v_fmac_f32_e32 v22, v50, v26
	v_fma_f32 v10, v50, v27, -v10
	v_cvt_f32_f64_e32 v26, v[36:37]
	v_cvt_f32_f64_e32 v27, v[42:43]
	v_cvt_f64_f32_e32 v[44:45], v22
	ds_read2_b64 v[22:25], v40 offset0:118 offset1:135
	s_clause 0x1
	buffer_load_dword v51, off, s[20:23], 0 offset:148
	buffer_load_dword v52, off, s[20:23], 0 offset:152
	v_cvt_f64_f32_e32 v[10:11], v10
	s_waitcnt vmcnt(0) lgkmcnt(1)
	v_mul_f32_e32 v34, v52, v19
	v_mul_f32_e32 v35, v52, v18
	s_clause 0x1
	buffer_load_dword v52, off, s[20:23], 0 offset:180
	buffer_load_dword v53, off, s[20:23], 0 offset:184
	v_fmac_f32_e32 v34, v51, v18
	v_fma_f32 v36, v51, v19, -v35
	v_mul_f64 v[18:19], v[44:45], s[0:1]
	v_cvt_f64_f32_e32 v[34:35], v34
	v_cvt_f64_f32_e32 v[36:37], v36
	v_cvt_f32_f64_e32 v18, v[18:19]
	s_waitcnt vmcnt(0)
	v_mul_f32_e32 v50, v53, v13
	v_fmac_f32_e32 v50, v52, v12
	v_mul_f32_e32 v12, v53, v12
	s_clause 0x1
	buffer_load_dword v53, off, s[20:23], 0 offset:172
	buffer_load_dword v54, off, s[20:23], 0 offset:176
	v_cvt_f64_f32_e32 v[42:43], v50
	v_fma_f32 v12, v52, v13, -v12
	s_clause 0x1
	buffer_load_dword v51, off, s[20:23], 0 offset:156
	buffer_load_dword v52, off, s[20:23], 0 offset:160
	s_waitcnt vmcnt(2) lgkmcnt(0)
	v_mul_f32_e32 v44, v54, v23
	v_mul_f32_e32 v45, v54, v22
	s_waitcnt vmcnt(0)
	v_mul_f32_e32 v13, v52, v17
	v_mul_f32_e32 v50, v52, v16
	v_fmac_f32_e32 v44, v53, v22
	v_fma_f32 v45, v53, v23, -v45
	v_cvt_f64_f32_e32 v[22:23], v12
	v_fmac_f32_e32 v13, v51, v16
	v_fma_f32 v12, v51, v17, -v50
	v_cvt_f64_f32_e32 v[16:17], v44
	v_cvt_f64_f32_e32 v[44:45], v45
	v_mul_f64 v[50:51], v[10:11], s[0:1]
	v_cvt_f64_f32_e32 v[52:53], v13
	v_cvt_f64_f32_e32 v[54:55], v12
	ds_read2_b64 v[10:13], v41 offset0:32 offset1:49
	global_store_dwordx2 v[28:29], v[4:5], off
	global_store_dwordx2 v[46:47], v[38:39], off
	;; [unrolled: 1-line block ×3, first 2 shown]
	v_add_co_u32 v28, vcc_lo, v56, s7
	v_add_co_ci_u32_e32 v29, vcc_lo, s6, v57, vcc_lo
	global_store_dwordx2 v[56:57], v[32:33], off
	v_mul_f64 v[4:5], v[34:35], s[0:1]
	v_mul_f64 v[32:33], v[42:43], s[0:1]
	global_store_dwordx2 v[28:29], v[26:27], off
	v_mul_f64 v[14:15], v[36:37], s[0:1]
	v_add_co_u32 v38, vcc_lo, v28, s3
	v_add_co_ci_u32_e32 v39, vcc_lo, s2, v29, vcc_lo
	v_mul_f64 v[22:23], v[22:23], s[0:1]
	v_mul_f64 v[16:17], v[16:17], s[0:1]
	v_mul_f64 v[34:35], v[44:45], s[0:1]
	s_clause 0x3
	buffer_load_dword v45, off, s[20:23], 0 offset:108
	buffer_load_dword v46, off, s[20:23], 0 offset:112
	;; [unrolled: 1-line block ×4, first 2 shown]
	v_mul_f64 v[36:37], v[54:55], s[0:1]
	v_mul_f64 v[26:27], v[52:53], s[0:1]
	v_cvt_f32_f64_e32 v19, v[50:51]
	buffer_load_dword v53, off, s[20:23], 0 offset:16 ; 4-byte Folded Reload
	v_cvt_f32_f64_e32 v4, v[4:5]
	v_cvt_f32_f64_e32 v32, v[32:33]
	;; [unrolled: 1-line block ×8, first 2 shown]
	s_waitcnt vmcnt(3) lgkmcnt(0)
	v_mul_f32_e32 v41, v46, v11
	s_waitcnt vmcnt(1)
	v_mul_f32_e32 v14, v44, v31
	v_mul_f32_e32 v15, v44, v30
	v_fmac_f32_e32 v41, v45, v10
	v_mul_f32_e32 v10, v46, v10
	v_fmac_f32_e32 v14, v43, v30
	v_fma_f32 v15, v43, v31, -v15
	s_waitcnt vmcnt(0)
	v_mad_u64_u32 v[49:50], null, s4, v53, 0
	v_fma_f32 v16, v45, v11, -v10
	v_cvt_f64_f32_e32 v[28:29], v41
	v_add_co_u32 v41, vcc_lo, v38, s3
	v_add_co_ci_u32_e32 v42, vcc_lo, s2, v39, vcc_lo
	v_cvt_f64_f32_e32 v[36:37], v16
	v_add_co_u32 v10, vcc_lo, v41, s3
	v_add_co_ci_u32_e32 v11, vcc_lo, s2, v42, vcc_lo
	v_cvt_f64_f32_e32 v[43:44], v14
	v_add_co_u32 v47, vcc_lo, v10, s3
	v_add_co_ci_u32_e32 v48, vcc_lo, s2, v11, vcc_lo
	v_cvt_f64_f32_e32 v[45:46], v15
	v_add_co_u32 v51, vcc_lo, v47, s3
	v_add_co_ci_u32_e32 v52, vcc_lo, s2, v48, vcc_lo
	ds_read2_b64 v[14:17], v255 offset0:136 offset1:153
	v_mul_f64 v[30:31], v[28:29], s[0:1]
	ds_read2_b64 v[26:29], v40 offset0:50 offset1:67
	global_store_dwordx2 v[38:39], v[18:19], off
	global_store_dwordx2 v[41:42], v[4:5], off
	global_store_dwordx2 v[10:11], v[32:33], off
	global_store_dwordx2 v[47:48], v[22:23], off
	global_store_dwordx2 v[51:52], v[34:35], off
	s_clause 0x1
	buffer_load_dword v34, off, s[20:23], 0 offset:44
	buffer_load_dword v35, off, s[20:23], 0 offset:48
	v_mov_b32_e32 v4, v50
	v_mul_f64 v[22:23], v[36:37], s[0:1]
	s_clause 0x3
	buffer_load_dword v36, off, s[20:23], 0 offset:68
	buffer_load_dword v37, off, s[20:23], 0 offset:72
	;; [unrolled: 1-line block ×4, first 2 shown]
	v_mad_u64_u32 v[4:5], null, s5, v53, v[4:5]
	s_mulk_i32 s5, 0xf340
	v_mul_f64 v[32:33], v[45:46], s[0:1]
	v_mov_b32_e32 v50, v4
	v_cvt_f32_f64_e32 v10, v[30:31]
	v_mul_f64 v[30:31], v[43:44], s[0:1]
	s_waitcnt vmcnt(4) lgkmcnt(1)
	v_mul_f32_e32 v5, v35, v14
	v_mul_f32_e32 v11, v35, v15
	s_waitcnt vmcnt(2)
	v_mul_f32_e32 v18, v37, v21
	v_mul_f32_e32 v19, v37, v20
	v_fma_f32 v5, v34, v15, -v5
	v_fmac_f32_e32 v11, v34, v14
	s_waitcnt vmcnt(0) lgkmcnt(0)
	v_mul_f32_e32 v38, v42, v27
	v_fmac_f32_e32 v18, v36, v20
	v_cvt_f64_f32_e32 v[34:35], v5
	v_fma_f32 v5, v36, v21, -v19
	v_cvt_f64_f32_e32 v[14:15], v11
	v_cvt_f64_f32_e32 v[36:37], v18
	ds_read2_b64 v[18:21], v40 offset0:220 offset1:237
	s_clause 0x1
	buffer_load_dword v43, off, s[20:23], 0 offset:116
	buffer_load_dword v44, off, s[20:23], 0 offset:120
	v_mul_f32_e32 v11, v42, v26
	v_fmac_f32_e32 v38, v41, v26
	v_cvt_f64_f32_e32 v[4:5], v5
	v_fma_f32 v41, v41, v27, -v11
	v_lshlrev_b64 v[26:27], 3, v[49:50]
	v_cvt_f64_f32_e32 v[38:39], v38
	v_cvt_f32_f64_e32 v11, v[22:23]
	v_mad_u64_u32 v[22:23], null, 0xfffff340, s4, v[51:52]
	v_cvt_f64_f32_e32 v[40:41], v41
	v_add_co_u32 v8, vcc_lo, v8, v26
	v_add_co_ci_u32_e32 v9, vcc_lo, v9, v27, vcc_lo
	v_cvt_f32_f64_e32 v27, v[32:33]
	v_cvt_f32_f64_e32 v26, v[30:31]
	v_mul_f64 v[14:15], v[14:15], s[0:1]
	v_mul_f64 v[32:33], v[36:37], s[0:1]
	;; [unrolled: 1-line block ×3, first 2 shown]
	s_sub_i32 s4, s5, s4
	v_add_nc_u32_e32 v23, s4, v23
	v_mul_f64 v[4:5], v[4:5], s[0:1]
	v_mul_f64 v[34:35], v[38:39], s[0:1]
	s_waitcnt vmcnt(0)
	v_mul_f32_e32 v36, v44, v25
	v_mul_f32_e32 v37, v44, v24
	s_clause 0x1
	buffer_load_dword v44, off, s[20:23], 0 offset:124
	buffer_load_dword v45, off, s[20:23], 0 offset:128
	global_store_dwordx2 v[8:9], v[10:11], off
	global_store_dwordx2 v[22:23], v[26:27], off
	v_cvt_f32_f64_e32 v8, v[14:15]
	v_fmac_f32_e32 v36, v43, v24
	v_fma_f32 v38, v43, v25, -v37
	v_mul_f64 v[24:25], v[40:41], s[0:1]
	v_add_co_u32 v14, vcc_lo, v22, s3
	v_cvt_f64_f32_e32 v[36:37], v36
	v_add_co_ci_u32_e32 v15, vcc_lo, s2, v23, vcc_lo
	v_cvt_f64_f32_e32 v[38:39], v38
	v_cvt_f32_f64_e32 v9, v[30:31]
	v_cvt_f32_f64_e32 v22, v[34:35]
	;; [unrolled: 1-line block ×3, first 2 shown]
	v_mul_f64 v[24:25], v[36:37], s[0:1]
	v_mul_f64 v[26:27], v[38:39], s[0:1]
	s_waitcnt vmcnt(0) lgkmcnt(0)
	v_mul_f32_e32 v42, v45, v19
	v_fmac_f32_e32 v42, v44, v18
	v_mul_f32_e32 v18, v45, v18
	v_cvt_f64_f32_e32 v[40:41], v42
	s_clause 0x3
	buffer_load_dword v42, off, s[20:23], 0 offset:76
	buffer_load_dword v43, off, s[20:23], 0 offset:80
	;; [unrolled: 1-line block ×4, first 2 shown]
	v_fma_f32 v18, v44, v19, -v18
	v_cvt_f32_f64_e32 v19, v[4:5]
	v_add_co_u32 v4, vcc_lo, v14, s3
	v_add_co_ci_u32_e32 v5, vcc_lo, s2, v15, vcc_lo
	v_cvt_f64_f32_e32 v[10:11], v18
	v_cvt_f32_f64_e32 v18, v[32:33]
	global_store_dwordx2 v[14:15], v[8:9], off
	v_mul_f64 v[30:31], v[40:41], s[0:1]
	v_mul_f64 v[10:11], v[10:11], s[0:1]
	s_waitcnt vmcnt(2)
	v_mul_f32_e32 v32, v43, v13
	s_waitcnt vmcnt(0)
	v_mul_f32_e32 v34, v37, v7
	v_mul_f32_e32 v35, v37, v6
	v_fmac_f32_e32 v32, v42, v12
	v_fmac_f32_e32 v34, v36, v6
	v_add_co_u32 v6, vcc_lo, v4, s3
	v_fma_f32 v35, v36, v7, -v35
	v_add_co_ci_u32_e32 v7, vcc_lo, s2, v5, vcc_lo
	global_store_dwordx2 v[4:5], v[18:19], off
	global_store_dwordx2 v[6:7], v[22:23], off
	v_cvt_f32_f64_e32 v5, v[26:27]
	s_clause 0x1
	buffer_load_dword v26, off, s[20:23], 0 offset:92
	buffer_load_dword v27, off, s[20:23], 0 offset:96
	v_cvt_f32_f64_e32 v4, v[24:25]
	v_cvt_f64_f32_e32 v[14:15], v35
	v_cvt_f32_f64_e32 v18, v[30:31]
	v_mul_f32_e32 v12, v43, v12
	v_cvt_f64_f32_e32 v[8:9], v34
	v_cvt_f64_f32_e32 v[32:33], v32
	v_cvt_f32_f64_e32 v19, v[10:11]
	v_add_co_u32 v6, vcc_lo, v6, s3
	v_fma_f32 v12, v42, v13, -v12
	v_add_co_ci_u32_e32 v7, vcc_lo, s2, v7, vcc_lo
	v_add_co_u32 v10, vcc_lo, v6, s3
	v_cvt_f64_f32_e32 v[12:13], v12
	v_add_co_ci_u32_e32 v11, vcc_lo, s2, v7, vcc_lo
	v_mul_f64 v[14:15], v[14:15], s[0:1]
	v_mul_f64 v[8:9], v[8:9], s[0:1]
	;; [unrolled: 1-line block ×4, first 2 shown]
	v_cvt_f32_f64_e32 v8, v[8:9]
	v_cvt_f32_f64_e32 v9, v[14:15]
	s_waitcnt vmcnt(0)
	v_mul_f32_e32 v24, v27, v17
	v_mul_f32_e32 v25, v27, v16
	v_fmac_f32_e32 v24, v26, v16
	v_fma_f32 v26, v26, v17, -v25
	v_cvt_f64_f32_e32 v[16:17], v24
	ds_read_b64 v[24:25], v255 offset:4624
	s_clause 0x1
	buffer_load_dword v35, off, s[20:23], 0 offset:28
	buffer_load_dword v36, off, s[20:23], 0 offset:32
	v_cvt_f64_f32_e32 v[26:27], v26
	s_waitcnt vmcnt(0)
	v_mul_f32_e32 v30, v36, v1
	v_mul_f32_e32 v31, v36, v0
	s_clause 0x3
	buffer_load_dword v36, off, s[20:23], 0 offset:36
	buffer_load_dword v37, off, s[20:23], 0 offset:40
	;; [unrolled: 1-line block ×4, first 2 shown]
	v_fmac_f32_e32 v30, v35, v0
	v_fma_f32 v31, v35, v1, -v31
	v_cvt_f64_f32_e32 v[0:1], v30
	v_mul_f64 v[0:1], v[0:1], s[0:1]
	v_cvt_f32_f64_e32 v0, v[0:1]
	s_waitcnt vmcnt(2)
	v_mul_f32_e32 v32, v37, v29
	s_waitcnt vmcnt(0)
	v_mul_f32_e32 v34, v41, v3
	v_mul_f32_e32 v33, v37, v28
	v_fmac_f32_e32 v32, v36, v28
	v_fmac_f32_e32 v34, v40, v2
	v_mul_f32_e32 v2, v41, v2
	s_clause 0x1
	buffer_load_dword v41, off, s[20:23], 0 offset:52
	buffer_load_dword v42, off, s[20:23], 0 offset:56
	v_fma_f32 v33, v36, v29, -v33
	v_cvt_f64_f32_e32 v[28:29], v31
	v_cvt_f64_f32_e32 v[30:31], v32
	v_fma_f32 v2, v40, v3, -v2
	v_cvt_f64_f32_e32 v[34:35], v34
	v_cvt_f64_f32_e32 v[32:33], v33
	;; [unrolled: 1-line block ×3, first 2 shown]
	v_mul_f64 v[14:15], v[30:31], s[0:1]
	v_mul_f64 v[2:3], v[2:3], s[0:1]
	v_cvt_f32_f64_e32 v14, v[14:15]
	s_waitcnt vmcnt(0)
	v_mul_f32_e32 v36, v42, v21
	v_mul_f32_e32 v37, v42, v20
	s_clause 0x1
	buffer_load_dword v42, off, s[20:23], 0 offset:60
	buffer_load_dword v43, off, s[20:23], 0 offset:64
	global_store_dwordx2 v[6:7], v[4:5], off
	global_store_dwordx2 v[10:11], v[18:19], off
	v_cvt_f32_f64_e32 v5, v[12:13]
	v_fmac_f32_e32 v36, v41, v20
	v_fma_f32 v37, v41, v21, -v37
	v_mul_f64 v[6:7], v[16:17], s[0:1]
	v_mul_f64 v[12:13], v[26:27], s[0:1]
	;; [unrolled: 1-line block ×3, first 2 shown]
	v_cvt_f64_f32_e32 v[20:21], v36
	v_mul_f64 v[18:19], v[32:33], s[0:1]
	v_cvt_f32_f64_e32 v4, v[22:23]
	v_mul_f64 v[22:23], v[34:35], s[0:1]
	v_add_co_u32 v10, vcc_lo, v10, s3
	v_add_co_ci_u32_e32 v11, vcc_lo, s2, v11, vcc_lo
	v_add_co_u32 v30, vcc_lo, v10, s7
	v_add_co_ci_u32_e32 v31, vcc_lo, s6, v11, vcc_lo
	v_cvt_f32_f64_e32 v6, v[6:7]
	v_cvt_f32_f64_e32 v7, v[12:13]
	v_add_co_u32 v12, vcc_lo, v30, s3
	v_mul_f64 v[20:21], v[20:21], s[0:1]
	v_add_co_ci_u32_e32 v13, vcc_lo, s2, v31, vcc_lo
	v_cvt_f32_f64_e32 v1, v[16:17]
	v_add_co_u32 v16, vcc_lo, v12, s3
	v_add_co_ci_u32_e32 v17, vcc_lo, s2, v13, vcc_lo
	v_cvt_f32_f64_e32 v15, v[18:19]
	v_cvt_f32_f64_e32 v18, v[22:23]
	;; [unrolled: 1-line block ×3, first 2 shown]
	v_add_co_u32 v22, vcc_lo, v16, s3
	v_add_co_ci_u32_e32 v23, vcc_lo, s2, v17, vcc_lo
	global_store_dwordx2 v[10:11], v[4:5], off
	v_add_co_u32 v4, vcc_lo, v22, s3
	v_add_co_ci_u32_e32 v5, vcc_lo, s2, v23, vcc_lo
	global_store_dwordx2 v[30:31], v[8:9], off
	v_add_co_u32 v8, vcc_lo, v4, s3
	v_cvt_f32_f64_e32 v2, v[20:21]
	v_add_co_ci_u32_e32 v9, vcc_lo, s2, v5, vcc_lo
	global_store_dwordx2 v[12:13], v[6:7], off
	v_add_co_u32 v6, vcc_lo, v8, s3
	v_add_co_ci_u32_e32 v7, vcc_lo, s2, v9, vcc_lo
	s_waitcnt vmcnt(0) lgkmcnt(0)
	v_mul_f32_e32 v38, v43, v25
	v_mul_f32_e32 v39, v43, v24
	v_fmac_f32_e32 v38, v42, v24
	v_fma_f32 v39, v42, v25, -v39
	v_cvt_f64_f32_e32 v[24:25], v37
	v_cvt_f64_f32_e32 v[36:37], v38
	;; [unrolled: 1-line block ×3, first 2 shown]
	v_mul_f64 v[24:25], v[24:25], s[0:1]
	v_mul_f64 v[26:27], v[36:37], s[0:1]
	;; [unrolled: 1-line block ×3, first 2 shown]
	v_cvt_f32_f64_e32 v3, v[24:25]
	v_cvt_f32_f64_e32 v20, v[26:27]
	;; [unrolled: 1-line block ×3, first 2 shown]
	global_store_dwordx2 v[16:17], v[0:1], off
	global_store_dwordx2 v[22:23], v[14:15], off
	;; [unrolled: 1-line block ×5, first 2 shown]
.LBB0_10:
	s_endpgm
	.section	.rodata,"a",@progbits
	.p2align	6, 0x0
	.amdhsa_kernel bluestein_single_back_len595_dim1_sp_op_CI_CI
		.amdhsa_group_segment_fixed_size 14280
		.amdhsa_private_segment_fixed_size 728
		.amdhsa_kernarg_size 104
		.amdhsa_user_sgpr_count 6
		.amdhsa_user_sgpr_private_segment_buffer 1
		.amdhsa_user_sgpr_dispatch_ptr 0
		.amdhsa_user_sgpr_queue_ptr 0
		.amdhsa_user_sgpr_kernarg_segment_ptr 1
		.amdhsa_user_sgpr_dispatch_id 0
		.amdhsa_user_sgpr_flat_scratch_init 0
		.amdhsa_user_sgpr_private_segment_size 0
		.amdhsa_wavefront_size32 1
		.amdhsa_uses_dynamic_stack 0
		.amdhsa_system_sgpr_private_segment_wavefront_offset 1
		.amdhsa_system_sgpr_workgroup_id_x 1
		.amdhsa_system_sgpr_workgroup_id_y 0
		.amdhsa_system_sgpr_workgroup_id_z 0
		.amdhsa_system_sgpr_workgroup_info 0
		.amdhsa_system_vgpr_workitem_id 0
		.amdhsa_next_free_vgpr 256
		.amdhsa_next_free_sgpr 24
		.amdhsa_reserve_vcc 1
		.amdhsa_reserve_flat_scratch 0
		.amdhsa_float_round_mode_32 0
		.amdhsa_float_round_mode_16_64 0
		.amdhsa_float_denorm_mode_32 3
		.amdhsa_float_denorm_mode_16_64 3
		.amdhsa_dx10_clamp 1
		.amdhsa_ieee_mode 1
		.amdhsa_fp16_overflow 0
		.amdhsa_workgroup_processor_mode 1
		.amdhsa_memory_ordered 1
		.amdhsa_forward_progress 0
		.amdhsa_shared_vgpr_count 0
		.amdhsa_exception_fp_ieee_invalid_op 0
		.amdhsa_exception_fp_denorm_src 0
		.amdhsa_exception_fp_ieee_div_zero 0
		.amdhsa_exception_fp_ieee_overflow 0
		.amdhsa_exception_fp_ieee_underflow 0
		.amdhsa_exception_fp_ieee_inexact 0
		.amdhsa_exception_int_div_zero 0
	.end_amdhsa_kernel
	.text
.Lfunc_end0:
	.size	bluestein_single_back_len595_dim1_sp_op_CI_CI, .Lfunc_end0-bluestein_single_back_len595_dim1_sp_op_CI_CI
                                        ; -- End function
	.section	.AMDGPU.csdata,"",@progbits
; Kernel info:
; codeLenInByte = 54960
; NumSgprs: 26
; NumVgprs: 256
; ScratchSize: 728
; MemoryBound: 0
; FloatMode: 240
; IeeeMode: 1
; LDSByteSize: 14280 bytes/workgroup (compile time only)
; SGPRBlocks: 3
; VGPRBlocks: 31
; NumSGPRsForWavesPerEU: 26
; NumVGPRsForWavesPerEU: 256
; Occupancy: 4
; WaveLimiterHint : 1
; COMPUTE_PGM_RSRC2:SCRATCH_EN: 1
; COMPUTE_PGM_RSRC2:USER_SGPR: 6
; COMPUTE_PGM_RSRC2:TRAP_HANDLER: 0
; COMPUTE_PGM_RSRC2:TGID_X_EN: 1
; COMPUTE_PGM_RSRC2:TGID_Y_EN: 0
; COMPUTE_PGM_RSRC2:TGID_Z_EN: 0
; COMPUTE_PGM_RSRC2:TIDIG_COMP_CNT: 0
	.text
	.p2alignl 6, 3214868480
	.fill 48, 4, 3214868480
	.type	__hip_cuid_cd1a4694b53c41f9,@object ; @__hip_cuid_cd1a4694b53c41f9
	.section	.bss,"aw",@nobits
	.globl	__hip_cuid_cd1a4694b53c41f9
__hip_cuid_cd1a4694b53c41f9:
	.byte	0                               ; 0x0
	.size	__hip_cuid_cd1a4694b53c41f9, 1

	.ident	"AMD clang version 19.0.0git (https://github.com/RadeonOpenCompute/llvm-project roc-6.4.0 25133 c7fe45cf4b819c5991fe208aaa96edf142730f1d)"
	.section	".note.GNU-stack","",@progbits
	.addrsig
	.addrsig_sym __hip_cuid_cd1a4694b53c41f9
	.amdgpu_metadata
---
amdhsa.kernels:
  - .args:
      - .actual_access:  read_only
        .address_space:  global
        .offset:         0
        .size:           8
        .value_kind:     global_buffer
      - .actual_access:  read_only
        .address_space:  global
        .offset:         8
        .size:           8
        .value_kind:     global_buffer
      - .actual_access:  read_only
        .address_space:  global
        .offset:         16
        .size:           8
        .value_kind:     global_buffer
      - .actual_access:  read_only
        .address_space:  global
        .offset:         24
        .size:           8
        .value_kind:     global_buffer
      - .actual_access:  read_only
        .address_space:  global
        .offset:         32
        .size:           8
        .value_kind:     global_buffer
      - .offset:         40
        .size:           8
        .value_kind:     by_value
      - .address_space:  global
        .offset:         48
        .size:           8
        .value_kind:     global_buffer
      - .address_space:  global
        .offset:         56
        .size:           8
        .value_kind:     global_buffer
      - .address_space:  global
        .offset:         64
        .size:           8
        .value_kind:     global_buffer
      - .address_space:  global
        .offset:         72
        .size:           8
        .value_kind:     global_buffer
      - .offset:         80
        .size:           4
        .value_kind:     by_value
      - .address_space:  global
        .offset:         88
        .size:           8
        .value_kind:     global_buffer
      - .address_space:  global
        .offset:         96
        .size:           8
        .value_kind:     global_buffer
    .group_segment_fixed_size: 14280
    .kernarg_segment_align: 8
    .kernarg_segment_size: 104
    .language:       OpenCL C
    .language_version:
      - 2
      - 0
    .max_flat_workgroup_size: 51
    .name:           bluestein_single_back_len595_dim1_sp_op_CI_CI
    .private_segment_fixed_size: 728
    .sgpr_count:     26
    .sgpr_spill_count: 0
    .symbol:         bluestein_single_back_len595_dim1_sp_op_CI_CI.kd
    .uniform_work_group_size: 1
    .uses_dynamic_stack: false
    .vgpr_count:     256
    .vgpr_spill_count: 185
    .wavefront_size: 32
    .workgroup_processor_mode: 1
amdhsa.target:   amdgcn-amd-amdhsa--gfx1030
amdhsa.version:
  - 1
  - 2
...

	.end_amdgpu_metadata
